;; amdgpu-corpus repo=ROCm/rocFFT kind=compiled arch=gfx906 opt=O3
	.text
	.amdgcn_target "amdgcn-amd-amdhsa--gfx906"
	.amdhsa_code_object_version 6
	.protected	bluestein_single_fwd_len1870_dim1_sp_op_CI_CI ; -- Begin function bluestein_single_fwd_len1870_dim1_sp_op_CI_CI
	.globl	bluestein_single_fwd_len1870_dim1_sp_op_CI_CI
	.p2align	8
	.type	bluestein_single_fwd_len1870_dim1_sp_op_CI_CI,@function
bluestein_single_fwd_len1870_dim1_sp_op_CI_CI: ; @bluestein_single_fwd_len1870_dim1_sp_op_CI_CI
; %bb.0:
	s_load_dwordx4 s[0:3], s[4:5], 0x28
	v_mul_u32_u24_e32 v1, 0x15f, v0
	v_add_u32_sdwa v222, s6, v1 dst_sel:DWORD dst_unused:UNUSED_PAD src0_sel:DWORD src1_sel:WORD_1
	v_mov_b32_e32 v223, 0
	s_waitcnt lgkmcnt(0)
	v_cmp_gt_u64_e32 vcc, s[0:1], v[222:223]
	s_and_saveexec_b64 s[0:1], vcc
	s_cbranch_execz .LBB0_23
; %bb.1:
	s_load_dwordx2 s[8:9], s[4:5], 0x0
	s_load_dwordx2 s[10:11], s[4:5], 0x38
	s_movk_i32 s0, 0xbb
	v_mul_lo_u16_sdwa v1, v1, s0 dst_sel:DWORD dst_unused:UNUSED_PAD src0_sel:WORD_1 src1_sel:DWORD
	v_sub_u16_e32 v223, v0, v1
	s_movk_i32 s0, 0x6e
	v_cmp_gt_u16_e64 s[0:1], s0, v223
	v_lshlrev_b32_e32 v85, 3, v223
	s_and_saveexec_b64 s[6:7], s[0:1]
	s_cbranch_execz .LBB0_3
; %bb.2:
	s_load_dwordx2 s[12:13], s[4:5], 0x18
	s_waitcnt lgkmcnt(0)
	s_load_dwordx4 s[12:15], s[12:13], 0x0
	s_waitcnt lgkmcnt(0)
	v_mad_u64_u32 v[0:1], s[16:17], s14, v222, 0
	v_mad_u64_u32 v[2:3], s[16:17], s12, v223, 0
	;; [unrolled: 1-line block ×4, first 2 shown]
	v_mov_b32_e32 v1, v4
	v_lshlrev_b64 v[0:1], 3, v[0:1]
	v_mov_b32_e32 v3, v5
	v_mov_b32_e32 v6, s3
	v_lshlrev_b64 v[2:3], 3, v[2:3]
	v_add_co_u32_e32 v0, vcc, s2, v0
	v_addc_co_u32_e32 v1, vcc, v6, v1, vcc
	v_add_co_u32_e32 v0, vcc, v0, v2
	v_addc_co_u32_e32 v1, vcc, v1, v3, vcc
	v_mov_b32_e32 v2, s9
	v_add_co_u32_e32 v60, vcc, s8, v85
	s_mul_i32 s2, s13, 0x370
	s_mul_hi_u32 s3, s12, 0x370
	v_addc_co_u32_e32 v61, vcc, 0, v2, vcc
	s_add_i32 s2, s3, s2
	s_mul_i32 s3, s12, 0x370
	v_mov_b32_e32 v3, s2
	v_add_co_u32_e32 v2, vcc, s3, v0
	v_addc_co_u32_e32 v3, vcc, v1, v3, vcc
	v_mov_b32_e32 v5, s2
	v_add_co_u32_e32 v4, vcc, s3, v2
	v_addc_co_u32_e32 v5, vcc, v3, v5, vcc
	v_mov_b32_e32 v7, s2
	v_add_co_u32_e32 v6, vcc, s3, v4
	v_addc_co_u32_e32 v7, vcc, v5, v7, vcc
	global_load_dwordx2 v[8:9], v[0:1], off
	global_load_dwordx2 v[10:11], v[2:3], off
	;; [unrolled: 1-line block ×4, first 2 shown]
	global_load_dwordx2 v[16:17], v85, s[8:9]
	global_load_dwordx2 v[18:19], v85, s[8:9] offset:880
	global_load_dwordx2 v[20:21], v85, s[8:9] offset:1760
	;; [unrolled: 1-line block ×3, first 2 shown]
	v_mov_b32_e32 v1, s2
	v_add_co_u32_e32 v0, vcc, s3, v6
	v_addc_co_u32_e32 v1, vcc, v7, v1, vcc
	global_load_dwordx2 v[2:3], v[0:1], off
	global_load_dwordx2 v[4:5], v85, s[8:9] offset:3520
	v_mov_b32_e32 v6, s2
	v_add_co_u32_e32 v0, vcc, s3, v0
	v_addc_co_u32_e32 v1, vcc, v1, v6, vcc
	s_movk_i32 s12, 0x1000
	v_add_co_u32_e32 v24, vcc, s12, v60
	v_addc_co_u32_e32 v25, vcc, 0, v61, vcc
	global_load_dwordx2 v[6:7], v[0:1], off
	v_mov_b32_e32 v26, s2
	v_add_co_u32_e32 v0, vcc, s3, v0
	v_addc_co_u32_e32 v1, vcc, v1, v26, vcc
	global_load_dwordx2 v[26:27], v[0:1], off
	v_mov_b32_e32 v28, s2
	;; [unrolled: 4-line block ×3, first 2 shown]
	v_add_co_u32_e32 v0, vcc, s3, v0
	v_addc_co_u32_e32 v1, vcc, v1, v30, vcc
	global_load_dwordx2 v[30:31], v[0:1], off
	global_load_dwordx2 v[32:33], v[24:25], off offset:304
	global_load_dwordx2 v[34:35], v[24:25], off offset:1184
	;; [unrolled: 1-line block ×4, first 2 shown]
	v_mov_b32_e32 v40, s2
	v_add_co_u32_e32 v0, vcc, s3, v0
	v_addc_co_u32_e32 v1, vcc, v1, v40, vcc
	global_load_dwordx2 v[40:41], v[0:1], off
	global_load_dwordx2 v[42:43], v[24:25], off offset:3824
	v_mov_b32_e32 v24, s2
	v_add_co_u32_e32 v0, vcc, s3, v0
	v_addc_co_u32_e32 v1, vcc, v1, v24, vcc
	s_movk_i32 s12, 0x2000
	v_add_co_u32_e32 v44, vcc, s12, v60
	v_addc_co_u32_e32 v45, vcc, 0, v61, vcc
	global_load_dwordx2 v[24:25], v[0:1], off
	v_mov_b32_e32 v46, s2
	v_add_co_u32_e32 v0, vcc, s3, v0
	v_addc_co_u32_e32 v1, vcc, v1, v46, vcc
	global_load_dwordx2 v[46:47], v[0:1], off
	v_mov_b32_e32 v48, s2
	v_add_co_u32_e32 v0, vcc, s3, v0
	v_addc_co_u32_e32 v1, vcc, v1, v48, vcc
	global_load_dwordx2 v[48:49], v[0:1], off
	v_mov_b32_e32 v50, s2
	v_add_co_u32_e32 v0, vcc, s3, v0
	v_addc_co_u32_e32 v1, vcc, v1, v50, vcc
	global_load_dwordx2 v[50:51], v[44:45], off offset:608
	global_load_dwordx2 v[52:53], v[0:1], off
	global_load_dwordx2 v[54:55], v[44:45], off offset:1488
	global_load_dwordx2 v[56:57], v[44:45], off offset:2368
	;; [unrolled: 1-line block ×3, first 2 shown]
	v_mov_b32_e32 v44, s2
	v_add_co_u32_e32 v0, vcc, s3, v0
	v_addc_co_u32_e32 v1, vcc, v1, v44, vcc
	s_movk_i32 s12, 0x3000
	v_add_co_u32_e32 v60, vcc, s12, v60
	v_addc_co_u32_e32 v61, vcc, 0, v61, vcc
	global_load_dwordx2 v[44:45], v[0:1], off
	v_mov_b32_e32 v64, s2
	v_add_co_u32_e32 v0, vcc, s3, v0
	v_addc_co_u32_e32 v1, vcc, v1, v64, vcc
	global_load_dwordx2 v[62:63], v[60:61], off offset:32
	global_load_dwordx2 v[64:65], v[0:1], off
	global_load_dwordx2 v[66:67], v[60:61], off offset:912
	v_mov_b32_e32 v68, s2
	v_add_co_u32_e32 v0, vcc, s3, v0
	v_addc_co_u32_e32 v1, vcc, v1, v68, vcc
	global_load_dwordx2 v[68:69], v[0:1], off
	global_load_dwordx2 v[71:72], v[60:61], off offset:1792
	s_waitcnt vmcnt(29)
	v_mul_f32_e32 v0, v9, v17
	v_mul_f32_e32 v1, v8, v17
	v_fmac_f32_e32 v0, v8, v16
	v_fma_f32 v1, v9, v16, -v1
	s_waitcnt vmcnt(28)
	v_mul_f32_e32 v8, v11, v19
	v_mul_f32_e32 v9, v10, v19
	v_fmac_f32_e32 v8, v10, v18
	v_fma_f32 v9, v11, v18, -v9
	ds_write2_b64 v85, v[0:1], v[8:9] offset1:110
	s_waitcnt vmcnt(27)
	v_mul_f32_e32 v0, v13, v21
	v_mul_f32_e32 v1, v12, v21
	s_waitcnt vmcnt(26)
	v_mul_f32_e32 v8, v15, v23
	v_mul_f32_e32 v9, v14, v23
	v_fmac_f32_e32 v0, v12, v20
	v_fma_f32 v1, v13, v20, -v1
	v_fmac_f32_e32 v8, v14, v22
	v_fma_f32 v9, v15, v22, -v9
	v_add_u32_e32 v10, 0x400, v85
	ds_write2_b64 v10, v[0:1], v[8:9] offset0:92 offset1:202
	s_waitcnt vmcnt(24)
	v_mul_f32_e32 v0, v3, v5
	v_mul_f32_e32 v1, v2, v5
	v_fmac_f32_e32 v0, v2, v4
	v_fma_f32 v1, v3, v4, -v1
	s_waitcnt vmcnt(19)
	v_mul_f32_e32 v2, v7, v33
	v_mul_f32_e32 v3, v6, v33
	v_fmac_f32_e32 v2, v6, v32
	v_fma_f32 v3, v7, v32, -v3
	v_add_u32_e32 v4, 0xc00, v85
	ds_write2_b64 v4, v[0:1], v[2:3] offset0:56 offset1:166
	s_waitcnt vmcnt(18)
	v_mul_f32_e32 v0, v27, v35
	v_mul_f32_e32 v1, v26, v35
	s_waitcnt vmcnt(17)
	v_mul_f32_e32 v2, v29, v37
	v_mul_f32_e32 v3, v28, v37
	v_fmac_f32_e32 v0, v26, v34
	v_fma_f32 v1, v27, v34, -v1
	v_fmac_f32_e32 v2, v28, v36
	v_fma_f32 v3, v29, v36, -v3
	v_add_u32_e32 v4, 0x1400, v85
	ds_write2_b64 v4, v[0:1], v[2:3] offset0:20 offset1:130
	s_waitcnt vmcnt(16)
	v_mul_f32_e32 v0, v31, v39
	v_mul_f32_e32 v1, v30, v39
	s_waitcnt vmcnt(14)
	v_mul_f32_e32 v2, v41, v43
	v_mul_f32_e32 v3, v40, v43
	v_fmac_f32_e32 v0, v30, v38
	v_fma_f32 v1, v31, v38, -v1
	v_fmac_f32_e32 v2, v40, v42
	v_fma_f32 v3, v41, v42, -v3
	v_add_u32_e32 v4, 0x1800, v85
	ds_write2_b64 v4, v[0:1], v[2:3] offset0:112 offset1:222
	v_add_u32_e32 v4, 0x2000, v85
	s_waitcnt vmcnt(10)
	v_mul_f32_e32 v0, v25, v51
	v_mul_f32_e32 v1, v24, v51
	s_waitcnt vmcnt(8)
	v_mul_f32_e32 v2, v47, v55
	v_mul_f32_e32 v3, v46, v55
	v_fmac_f32_e32 v0, v24, v50
	v_fma_f32 v1, v25, v50, -v1
	v_fmac_f32_e32 v2, v46, v54
	v_fma_f32 v3, v47, v54, -v3
	ds_write2_b64 v4, v[0:1], v[2:3] offset0:76 offset1:186
	s_waitcnt vmcnt(7)
	v_mul_f32_e32 v0, v49, v57
	v_mul_f32_e32 v1, v48, v57
	s_waitcnt vmcnt(6)
	v_mul_f32_e32 v2, v53, v59
	v_mul_f32_e32 v3, v52, v59
	v_fmac_f32_e32 v0, v48, v56
	v_fma_f32 v1, v49, v56, -v1
	v_fmac_f32_e32 v2, v52, v58
	v_fma_f32 v3, v53, v58, -v3
	v_add_u32_e32 v4, 0x2800, v85
	ds_write2_b64 v4, v[0:1], v[2:3] offset0:40 offset1:150
	v_add_u32_e32 v4, 0x3000, v85
	s_waitcnt vmcnt(4)
	v_mul_f32_e32 v0, v45, v63
	v_mul_f32_e32 v1, v44, v63
	s_waitcnt vmcnt(2)
	v_mul_f32_e32 v2, v65, v67
	v_mul_f32_e32 v3, v64, v67
	v_fmac_f32_e32 v0, v44, v62
	v_fma_f32 v1, v45, v62, -v1
	v_fmac_f32_e32 v2, v64, v66
	v_fma_f32 v3, v65, v66, -v3
	ds_write2_b64 v4, v[0:1], v[2:3] offset0:4 offset1:114
	s_waitcnt vmcnt(0)
	v_mul_f32_e32 v0, v69, v72
	v_mul_f32_e32 v1, v68, v72
	v_fmac_f32_e32 v0, v68, v71
	v_fma_f32 v1, v69, v71, -v1
	ds_write_b64 v85, v[0:1] offset:14080
.LBB0_3:
	s_or_b64 exec, exec, s[6:7]
	s_load_dwordx2 s[2:3], s[4:5], 0x20
	s_load_dwordx2 s[12:13], s[4:5], 0x8
	v_mov_b32_e32 v12, 0
	v_mov_b32_e32 v13, 0
	s_waitcnt lgkmcnt(0)
	s_barrier
	s_waitcnt lgkmcnt(0)
                                        ; implicit-def: $vgpr18
                                        ; implicit-def: $vgpr24
                                        ; implicit-def: $vgpr36
                                        ; implicit-def: $vgpr40
                                        ; implicit-def: $vgpr8
                                        ; implicit-def: $vgpr34
                                        ; implicit-def: $vgpr30
                                        ; implicit-def: $vgpr22
	s_and_saveexec_b64 s[4:5], s[0:1]
	s_cbranch_execz .LBB0_5
; %bb.4:
	v_add_u32_e32 v0, 0x400, v85
	ds_read2_b64 v[20:23], v0 offset0:92 offset1:202
	v_add_u32_e32 v0, 0xc00, v85
	ds_read2_b64 v[28:31], v0 offset0:56 offset1:166
	;; [unrolled: 2-line block ×6, first 2 shown]
	v_add_u32_e32 v0, 0x3000, v85
	ds_read2_b64 v[12:15], v85 offset1:110
	ds_read2_b64 v[40:43], v0 offset0:4 offset1:114
	ds_read_b64 v[8:9], v85 offset:14080
.LBB0_5:
	s_or_b64 exec, exec, s[4:5]
	s_waitcnt lgkmcnt(0)
	v_sub_f32_e32 v76, v15, v9
	v_mul_f32_e32 v47, 0xbeb8f4ab, v76
	v_sub_f32_e32 v81, v21, v43
	v_add_f32_e32 v44, v8, v14
	v_sub_f32_e32 v79, v14, v8
	v_mov_b32_e32 v0, v47
	v_mul_f32_e32 v53, 0xbf2c7751, v81
	v_add_f32_e32 v45, v9, v15
	s_mov_b32 s6, 0x3f6eb680
	v_mul_f32_e32 v198, 0xbeb8f4ab, v79
	v_fmac_f32_e32 v0, 0x3f6eb680, v44
	v_add_f32_e32 v46, v42, v20
	v_sub_f32_e32 v83, v20, v42
	v_mov_b32_e32 v2, v53
	v_add_f32_e32 v0, v0, v12
	v_fma_f32 v1, v45, s6, -v198
	s_mov_b32 s7, 0x3f3d2fb0
	v_add_f32_e32 v50, v43, v21
	v_mul_f32_e32 v55, 0xbf2c7751, v83
	v_fmac_f32_e32 v2, 0x3f3d2fb0, v46
	v_sub_f32_e32 v88, v23, v41
	v_add_f32_e32 v1, v1, v13
	v_add_f32_e32 v0, v2, v0
	v_fma_f32 v2, v50, s7, -v55
	v_mul_f32_e32 v57, 0xbf65296c, v88
	v_add_f32_e32 v1, v2, v1
	v_add_f32_e32 v52, v40, v22
	v_sub_f32_e32 v92, v22, v40
	v_mov_b32_e32 v2, v57
	s_mov_b32 s14, 0x3ee437d1
	v_add_f32_e32 v54, v41, v23
	v_mul_f32_e32 v59, 0xbf65296c, v92
	v_fmac_f32_e32 v2, 0x3ee437d1, v52
	v_sub_f32_e32 v100, v29, v39
	v_add_f32_e32 v0, v2, v0
	v_fma_f32 v2, v54, s14, -v59
	v_mul_f32_e32 v61, 0xbf7ee86f, v100
	v_add_f32_e32 v1, v2, v1
	v_add_f32_e32 v56, v38, v28
	v_sub_f32_e32 v107, v28, v38
	v_mov_b32_e32 v2, v61
	s_mov_b32 s15, 0x3dbcf732
	v_add_f32_e32 v58, v39, v29
	v_mul_f32_e32 v63, 0xbf7ee86f, v107
	v_fmac_f32_e32 v2, 0x3dbcf732, v56
	v_sub_f32_e32 v108, v31, v37
	;; [unrolled: 12-line block ×5, first 2 shown]
	v_add_f32_e32 v0, v2, v0
	v_fma_f32 v2, v73, s18, -v80
	v_mul_f32_e32 v82, 0xbe3c28d5, v145
	v_add_f32_e32 v1, v2, v1
	v_add_f32_e32 v75, v18, v16
	v_mov_b32_e32 v2, v82
	v_sub_f32_e32 v147, v16, v18
	s_mov_b32 s19, 0xbf7ba420
	v_fmac_f32_e32 v2, 0xbf7ba420, v75
	v_add_f32_e32 v78, v19, v17
	v_mul_f32_e32 v84, 0xbe3c28d5, v147
	v_add_f32_e32 v71, v2, v0
	v_fma_f32 v0, v78, s19, -v84
	v_mul_f32_e32 v89, 0xbf2c7751, v76
	v_add_f32_e32 v72, v0, v1
	v_mov_b32_e32 v0, v89
	v_mul_f32_e32 v90, 0xbf7ee86f, v81
	v_fmac_f32_e32 v0, 0x3f3d2fb0, v44
	v_mov_b32_e32 v1, v90
	v_add_f32_e32 v0, v0, v12
	v_fmac_f32_e32 v1, 0x3dbcf732, v46
	v_mul_f32_e32 v96, 0xbf2c7751, v79
	v_add_f32_e32 v0, v1, v0
	v_fma_f32 v1, v45, s7, -v96
	v_mul_f32_e32 v86, 0xbf7ee86f, v83
	v_add_f32_e32 v1, v1, v13
	v_fma_f32 v2, v50, s15, -v86
	v_mul_f32_e32 v91, 0xbf4c4adb, v88
	v_add_f32_e32 v1, v2, v1
	v_mov_b32_e32 v2, v91
	v_fmac_f32_e32 v2, 0xbf1a4643, v52
	v_mul_f32_e32 v98, 0xbf4c4adb, v92
	v_add_f32_e32 v0, v2, v0
	v_fma_f32 v2, v54, s17, -v98
	v_mul_f32_e32 v93, 0xbe3c28d5, v100
	v_add_f32_e32 v1, v2, v1
	v_mov_b32_e32 v2, v93
	v_fmac_f32_e32 v2, 0xbf7ba420, v56
	;; [unrolled: 7-line block ×6, first 2 shown]
	v_mul_f32_e32 v106, 0x3eb8f4ab, v147
	v_mul_f32_e32 v109, 0xbf65296c, v76
	v_fma_f32 v3, v78, s6, -v106
	v_add_f32_e32 v2, v2, v0
	v_mov_b32_e32 v0, v109
	v_mul_f32_e32 v110, 0xbf4c4adb, v81
	v_add_f32_e32 v3, v3, v1
	v_fmac_f32_e32 v0, 0x3ee437d1, v44
	v_mov_b32_e32 v1, v110
	v_add_f32_e32 v0, v0, v12
	v_fmac_f32_e32 v1, 0xbf1a4643, v46
	v_mul_f32_e32 v111, 0x3e3c28d5, v88
	v_add_f32_e32 v0, v1, v0
	v_mov_b32_e32 v1, v111
	v_fmac_f32_e32 v1, 0xbf7ba420, v52
	v_mul_f32_e32 v112, 0x3f763a35, v100
	v_add_f32_e32 v0, v1, v0
	v_mov_b32_e32 v1, v112
	;; [unrolled: 4-line block ×6, first 2 shown]
	v_fmac_f32_e32 v1, 0xbf59a7d5, v75
	v_mul_f32_e32 v119, 0xbf65296c, v79
	v_add_f32_e32 v0, v1, v0
	v_fma_f32 v1, v45, s14, -v119
	v_mul_f32_e32 v120, 0xbf4c4adb, v83
	v_add_f32_e32 v1, v1, v13
	v_fma_f32 v4, v50, s17, -v120
	;; [unrolled: 3-line block ×8, first 2 shown]
	v_mul_f32_e32 v128, 0xbf7ee86f, v76
	v_add_f32_e32 v1, v4, v1
	v_mov_b32_e32 v4, v128
	v_mul_f32_e32 v129, 0xbe3c28d5, v81
	v_fmac_f32_e32 v4, 0x3dbcf732, v44
	v_mov_b32_e32 v5, v129
	v_add_f32_e32 v4, v4, v12
	v_fmac_f32_e32 v5, 0xbf7ba420, v46
	v_mul_f32_e32 v134, 0xbf7ee86f, v79
	v_add_f32_e32 v4, v5, v4
	v_fma_f32 v5, v45, s15, -v134
	v_mul_f32_e32 v135, 0xbe3c28d5, v83
	v_add_f32_e32 v5, v5, v13
	v_fma_f32 v6, v50, s19, -v135
	v_mul_f32_e32 v131, 0x3f763a35, v88
	v_add_f32_e32 v5, v6, v5
	v_mov_b32_e32 v6, v131
	v_fmac_f32_e32 v6, 0xbe8c1d8e, v52
	v_mul_f32_e32 v138, 0x3f763a35, v92
	v_add_f32_e32 v4, v6, v4
	v_fma_f32 v6, v54, s16, -v138
	v_mul_f32_e32 v132, 0x3eb8f4ab, v100
	v_add_f32_e32 v5, v6, v5
	v_mov_b32_e32 v6, v132
	v_fmac_f32_e32 v6, 0x3f6eb680, v56
	;; [unrolled: 7-line block ×6, first 2 shown]
	v_mul_f32_e32 v146, 0x3f2c7751, v147
	v_mul_f32_e32 v148, 0xbf763a35, v76
	v_fma_f32 v7, v78, s7, -v146
	v_add_f32_e32 v6, v6, v4
	v_mov_b32_e32 v4, v148
	v_mul_f32_e32 v149, 0x3f06c442, v81
	v_add_f32_e32 v7, v7, v5
	v_fmac_f32_e32 v4, 0xbe8c1d8e, v44
	v_mov_b32_e32 v5, v149
	v_add_f32_e32 v4, v4, v12
	v_fmac_f32_e32 v5, 0xbf59a7d5, v46
	v_mul_f32_e32 v150, 0x3f2c7751, v88
	v_add_f32_e32 v4, v5, v4
	v_mov_b32_e32 v5, v150
	v_fmac_f32_e32 v5, 0x3f3d2fb0, v52
	v_mul_f32_e32 v151, 0xbf65296c, v100
	v_add_f32_e32 v4, v5, v4
	v_mov_b32_e32 v5, v151
	;; [unrolled: 4-line block ×6, first 2 shown]
	v_fmac_f32_e32 v5, 0xbf1a4643, v75
	v_mul_f32_e32 v156, 0xbf763a35, v79
	v_add_f32_e32 v4, v5, v4
	v_fma_f32 v5, v45, s16, -v156
	v_mul_f32_e32 v157, 0x3f06c442, v83
	v_add_f32_e32 v5, v5, v13
	v_fma_f32 v10, v50, s18, -v157
	;; [unrolled: 3-line block ×8, first 2 shown]
	v_mul_f32_e32 v164, 0xbf4c4adb, v76
	v_add_f32_e32 v5, v10, v5
	v_mov_b32_e32 v10, v164
	v_mul_f32_e32 v165, 0x3f763a35, v81
	v_fmac_f32_e32 v10, 0xbf1a4643, v44
	v_mov_b32_e32 v11, v165
	v_add_f32_e32 v10, v10, v12
	v_fmac_f32_e32 v11, 0xbe8c1d8e, v46
	v_mul_f32_e32 v172, 0xbf4c4adb, v79
	v_add_f32_e32 v10, v11, v10
	v_fma_f32 v11, v45, s17, -v172
	v_mul_f32_e32 v173, 0x3f763a35, v83
	v_add_f32_e32 v11, v11, v13
	v_fma_f32 v48, v50, s16, -v173
	v_mul_f32_e32 v166, 0xbeb8f4ab, v88
	v_add_f32_e32 v11, v48, v11
	v_mov_b32_e32 v48, v166
	v_fmac_f32_e32 v48, 0x3f6eb680, v52
	v_mul_f32_e32 v174, 0xbeb8f4ab, v92
	v_add_f32_e32 v10, v48, v10
	v_fma_f32 v48, v54, s6, -v174
	v_mul_f32_e32 v167, 0xbf06c442, v100
	v_add_f32_e32 v11, v48, v11
	v_mov_b32_e32 v48, v167
	v_fmac_f32_e32 v48, 0xbf59a7d5, v56
	;; [unrolled: 7-line block ×6, first 2 shown]
	v_mul_f32_e32 v179, 0x3f65296c, v147
	v_mul_f32_e32 v180, 0xbf06c442, v76
	v_fma_f32 v49, v78, s14, -v179
	v_add_f32_e32 v10, v48, v10
	v_mov_b32_e32 v48, v180
	v_mul_f32_e32 v181, 0x3f65296c, v81
	v_add_f32_e32 v11, v49, v11
	v_fmac_f32_e32 v48, 0xbf59a7d5, v44
	v_mov_b32_e32 v49, v181
	v_add_f32_e32 v48, v48, v12
	v_fmac_f32_e32 v49, 0x3ee437d1, v46
	v_mul_f32_e32 v188, 0xbf06c442, v79
	v_add_f32_e32 v48, v49, v48
	v_fma_f32 v49, v45, s18, -v188
	v_mul_f32_e32 v189, 0x3f65296c, v83
	v_add_f32_e32 v49, v49, v13
	v_fma_f32 v87, v50, s14, -v189
	v_mul_f32_e32 v182, 0xbf7ee86f, v88
	v_add_f32_e32 v49, v87, v49
	v_mov_b32_e32 v87, v182
	v_fmac_f32_e32 v87, 0x3dbcf732, v52
	v_mul_f32_e32 v190, 0xbf7ee86f, v92
	v_add_f32_e32 v48, v87, v48
	v_fma_f32 v87, v54, s15, -v190
	v_mul_f32_e32 v183, 0x3f4c4adb, v100
	v_add_f32_e32 v49, v87, v49
	v_mov_b32_e32 v87, v183
	v_fmac_f32_e32 v87, 0xbf1a4643, v56
	;; [unrolled: 7-line block ×6, first 2 shown]
	v_mul_f32_e32 v195, 0xbf763a35, v147
	v_add_f32_e32 v48, v87, v48
	v_fma_f32 v87, v78, s16, -v195
	v_add_f32_e32 v49, v87, v49
	v_mul_lo_u16_e32 v224, 17, v223
	s_barrier
	s_and_saveexec_b64 s[4:5], s[0:1]
	s_cbranch_execz .LBB0_7
; %bb.6:
	v_mul_f32_e32 v251, 0xbe3c28d5, v79
	v_mov_b32_e32 v79, v251
	v_mul_f32_e32 v83, 0x3eb8f4ab, v83
	v_fmac_f32_e32 v79, 0xbf7ba420, v45
	v_mov_b32_e32 v196, v83
	v_mul_f32_e32 v252, 0xbf06c442, v92
	v_add_f32_e32 v79, v79, v13
	v_fmac_f32_e32 v196, 0x3f6eb680, v50
	v_mov_b32_e32 v92, v252
	v_add_f32_e32 v79, v196, v79
	v_fmac_f32_e32 v92, 0xbf59a7d5, v54
	v_mul_f32_e32 v253, 0x3f2c7751, v107
	v_add_f32_e32 v79, v92, v79
	v_mov_b32_e32 v92, v253
	v_fmac_f32_e32 v92, 0x3f3d2fb0, v58
	v_mul_f32_e32 v254, 0xbf4c4adb, v117
	v_add_f32_e32 v79, v92, v79
	v_mov_b32_e32 v92, v254
	;; [unrolled: 4-line block ×4, first 2 shown]
	v_mul_f32_e32 v211, 0xbf59a7d5, v45
	v_fmac_f32_e32 v92, 0xbe8c1d8e, v73
	v_mul_f32_e32 v147, 0x3f7ee86f, v147
	v_mul_f32_e32 v225, 0x3ee437d1, v50
	v_add_f32_e32 v79, v92, v79
	v_mov_b32_e32 v92, v147
	v_add_f32_e32 v107, v188, v211
	v_mul_f32_e32 v239, 0x3dbcf732, v54
	v_fmac_f32_e32 v92, 0x3dbcf732, v78
	v_mul_f32_e32 v76, 0xbe3c28d5, v76
	v_add_f32_e32 v117, v189, v225
	v_add_f32_e32 v107, v107, v13
	;; [unrolled: 1-line block ×3, first 2 shown]
	v_fma_f32 v79, v44, s19, -v76
	v_mul_f32_e32 v81, 0x3eb8f4ab, v81
	v_mul_f32_e32 v255, 0xbf4c4adb, v108
	;; [unrolled: 1-line block ×3, first 2 shown]
	v_add_f32_e32 v107, v117, v107
	v_add_f32_e32 v117, v190, v239
	;; [unrolled: 1-line block ×3, first 2 shown]
	v_fma_f32 v92, v46, s6, -v81
	v_mul_f32_e32 v88, 0xbf06c442, v88
	v_add_f32_e32 v107, v117, v107
	v_add_f32_e32 v108, v191, v108
	;; [unrolled: 1-line block ×3, first 2 shown]
	v_fma_f32 v92, v52, s18, -v88
	v_mul_f32_e32 v100, 0x3f2c7751, v100
	v_add_f32_e32 v107, v108, v107
	v_mul_f32_e32 v108, 0x3f6eb680, v62
	v_add_f32_e32 v79, v92, v79
	v_fma_f32 v92, v56, s7, -v100
	v_add_f32_e32 v108, v192, v108
	v_add_f32_e32 v79, v92, v79
	v_fma_f32 v92, v60, s17, -v255
	v_mul_f32_e32 v87, 0x3f65296c, v118
	v_add_f32_e32 v107, v108, v107
	v_mul_f32_e32 v108, 0xbf7ba420, v66
	v_mul_f32_e32 v210, 0xbf59a7d5, v44
	v_add_f32_e32 v79, v92, v79
	v_fma_f32 v92, v64, s14, -v87
	v_mul_f32_e32 v70, 0xbf763a35, v130
	v_add_f32_e32 v108, v193, v108
	v_mov_b32_e32 v51, v224
	v_mul_f32_e32 v224, 0x3ee437d1, v46
	v_add_f32_e32 v79, v92, v79
	v_fma_f32 v92, v68, s16, -v70
	v_mul_f32_e32 v145, 0x3f7ee86f, v145
	v_add_f32_e32 v107, v108, v107
	v_mul_f32_e32 v108, 0x3f3d2fb0, v73
	v_sub_f32_e32 v117, v210, v180
	v_mul_f32_e32 v238, 0x3dbcf732, v52
	v_add_f32_e32 v79, v92, v79
	v_fma_f32 v92, v75, s15, -v145
	v_add_f32_e32 v108, v194, v108
	v_sub_f32_e32 v118, v224, v181
	v_add_f32_e32 v117, v117, v12
	v_add_f32_e32 v196, v92, v79
	v_mul_f32_e32 v92, 0xbf1a4643, v56
	v_add_f32_e32 v107, v108, v107
	v_mul_f32_e32 v108, 0xbe8c1d8e, v78
	v_add_f32_e32 v117, v118, v117
	v_sub_f32_e32 v182, v238, v182
	v_add_f32_e32 v108, v195, v108
	v_mul_f32_e32 v195, 0x3f6eb680, v60
	v_add_f32_e32 v117, v182, v117
	v_sub_f32_e32 v92, v92, v183
	v_add_f32_e32 v92, v92, v117
	v_sub_f32_e32 v117, v195, v184
	v_add_f32_e32 v92, v117, v92
	v_mul_f32_e32 v117, 0xbf7ba420, v64
	v_sub_f32_e32 v117, v117, v185
	v_add_f32_e32 v92, v117, v92
	v_mul_f32_e32 v117, 0x3f3d2fb0, v68
	v_sub_f32_e32 v117, v117, v186
	v_add_f32_e32 v92, v117, v92
	v_mul_f32_e32 v117, 0xbe8c1d8e, v75
	v_mul_f32_e32 v209, 0xbf1a4643, v45
	v_sub_f32_e32 v117, v117, v187
	v_mov_b32_e32 v212, v223
	v_mul_f32_e32 v223, 0xbe8c1d8e, v50
	v_add_f32_e32 v108, v108, v107
	v_add_f32_e32 v107, v117, v92
	;; [unrolled: 1-line block ×3, first 2 shown]
	v_mul_f32_e32 v237, 0x3f6eb680, v54
	v_add_f32_e32 v173, v173, v223
	v_add_f32_e32 v117, v117, v13
	v_mul_f32_e32 v79, 0xbf59a7d5, v58
	v_add_f32_e32 v117, v173, v117
	v_add_f32_e32 v174, v174, v237
	v_mul_f32_e32 v208, 0xbf1a4643, v44
	v_mul_f32_e32 v118, 0x3dbcf732, v62
	v_add_f32_e32 v117, v174, v117
	v_add_f32_e32 v79, v175, v79
	v_mov_b32_e32 v95, v222
	v_mul_f32_e32 v222, 0xbe8c1d8e, v46
	v_mul_f32_e32 v173, 0x3f3d2fb0, v66
	v_add_f32_e32 v79, v79, v117
	v_add_f32_e32 v117, v176, v118
	v_sub_f32_e32 v118, v208, v164
	v_mul_f32_e32 v236, 0x3f6eb680, v52
	v_add_f32_e32 v79, v117, v79
	v_add_f32_e32 v117, v177, v173
	v_sub_f32_e32 v165, v222, v165
	v_add_f32_e32 v118, v118, v12
	v_mul_f32_e32 v250, 0xbf59a7d5, v56
	v_add_f32_e32 v79, v117, v79
	v_mul_f32_e32 v117, 0xbf7ba420, v73
	v_add_f32_e32 v118, v165, v118
	v_sub_f32_e32 v166, v236, v166
	v_mul_f32_e32 v181, 0x3dbcf732, v60
	v_add_f32_e32 v117, v178, v117
	v_add_f32_e32 v118, v166, v118
	v_sub_f32_e32 v167, v250, v167
	v_mul_f32_e32 v209, 0x3f3d2fb0, v64
	v_add_f32_e32 v79, v117, v79
	v_mul_f32_e32 v117, 0x3ee437d1, v78
	v_add_f32_e32 v118, v167, v118
	v_sub_f32_e32 v168, v181, v168
	v_add_f32_e32 v117, v179, v117
	v_mul_f32_e32 v179, 0xbf7ba420, v68
	v_add_f32_e32 v118, v168, v118
	v_sub_f32_e32 v169, v209, v169
	v_add_f32_e32 v118, v169, v118
	v_sub_f32_e32 v170, v179, v170
	v_mul_f32_e32 v236, 0x3ee437d1, v75
	v_mul_f32_e32 v207, 0xbe8c1d8e, v45
	v_add_f32_e32 v170, v170, v118
	v_add_f32_e32 v118, v117, v79
	v_sub_f32_e32 v79, v236, v171
	v_mul_f32_e32 v221, 0xbf59a7d5, v50
	v_add_f32_e32 v117, v79, v170
	v_add_f32_e32 v79, v156, v207
	v_mul_f32_e32 v235, 0x3f3d2fb0, v54
	v_add_f32_e32 v79, v79, v13
	v_add_f32_e32 v156, v157, v221
	v_mul_f32_e32 v249, 0x3ee437d1, v58
	v_add_f32_e32 v79, v156, v79
	v_add_f32_e32 v156, v158, v235
	v_mul_f32_e32 v180, 0xbf7ba420, v62
	v_add_f32_e32 v79, v156, v79
	v_add_f32_e32 v156, v159, v249
	v_mul_f32_e32 v172, 0x3dbcf732, v66
	v_add_f32_e32 v79, v156, v79
	v_add_f32_e32 v156, v160, v180
	v_mul_f32_e32 v164, 0x3f6eb680, v73
	v_add_f32_e32 v79, v156, v79
	v_add_f32_e32 v156, v161, v172
	v_mul_f32_e32 v179, 0xbf1a4643, v78
	v_add_f32_e32 v79, v156, v79
	v_add_f32_e32 v156, v162, v164
	v_mul_f32_e32 v206, 0xbe8c1d8e, v44
	v_add_f32_e32 v79, v156, v79
	v_add_f32_e32 v156, v163, v179
	v_mul_f32_e32 v220, 0xbf59a7d5, v46
	v_add_f32_e32 v156, v156, v79
	v_sub_f32_e32 v79, v206, v148
	v_mul_f32_e32 v234, 0x3f3d2fb0, v52
	v_add_f32_e32 v79, v79, v12
	v_sub_f32_e32 v148, v220, v149
	v_mul_f32_e32 v248, 0x3ee437d1, v56
	v_add_f32_e32 v79, v148, v79
	v_sub_f32_e32 v148, v234, v150
	v_mul_f32_e32 v194, 0xbf7ba420, v60
	v_add_f32_e32 v79, v148, v79
	v_sub_f32_e32 v148, v248, v151
	v_mul_f32_e32 v195, 0x3dbcf732, v64
	v_add_f32_e32 v79, v148, v79
	v_sub_f32_e32 v148, v194, v152
	v_mul_f32_e32 v178, 0x3f6eb680, v68
	v_add_f32_e32 v79, v148, v79
	v_sub_f32_e32 v148, v195, v153
	v_mul_f32_e32 v169, 0xbf1a4643, v75
	v_add_f32_e32 v79, v148, v79
	v_sub_f32_e32 v148, v178, v154
	v_mul_f32_e32 v205, 0x3dbcf732, v45
	v_add_f32_e32 v79, v148, v79
	v_sub_f32_e32 v148, v169, v155
	v_mul_f32_e32 v219, 0xbf7ba420, v50
	v_add_f32_e32 v155, v148, v79
	v_add_f32_e32 v79, v134, v205
	v_mul_f32_e32 v233, 0xbe8c1d8e, v54
	v_add_f32_e32 v79, v79, v13
	v_add_f32_e32 v134, v135, v219
	v_mul_f32_e32 v247, 0x3f6eb680, v58
	v_add_f32_e32 v79, v134, v79
	v_add_f32_e32 v134, v138, v233
	v_mul_f32_e32 v130, 0x3ee437d1, v62
	v_add_f32_e32 v79, v134, v79
	v_add_f32_e32 v134, v140, v247
	v_mul_f32_e32 v92, 0xbf59a7d5, v66
	v_add_f32_e32 v79, v134, v79
	v_add_f32_e32 v130, v142, v130
	v_mul_f32_e32 v177, 0xbf1a4643, v73
	v_add_f32_e32 v79, v130, v79
	v_add_f32_e32 v92, v143, v92
	v_mul_f32_e32 v209, 0x3f3d2fb0, v78
	v_add_f32_e32 v79, v92, v79
	v_add_f32_e32 v92, v144, v177
	v_mul_f32_e32 v204, 0x3dbcf732, v44
	v_add_f32_e32 v79, v92, v79
	v_add_f32_e32 v92, v146, v209
	v_mul_f32_e32 v218, 0xbf7ba420, v46
	v_add_f32_e32 v130, v92, v79
	v_sub_f32_e32 v79, v204, v128
	v_mul_f32_e32 v232, 0xbe8c1d8e, v52
	v_add_f32_e32 v79, v79, v12
	v_sub_f32_e32 v92, v218, v129
	v_mul_f32_e32 v246, 0x3f6eb680, v56
	v_add_f32_e32 v79, v92, v79
	v_sub_f32_e32 v92, v232, v131
	v_mul_f32_e32 v193, 0x3ee437d1, v60
	v_add_f32_e32 v79, v92, v79
	v_sub_f32_e32 v92, v246, v132
	v_mul_f32_e32 v187, 0xbf59a7d5, v64
	v_add_f32_e32 v79, v92, v79
	v_sub_f32_e32 v92, v193, v133
	v_mul_f32_e32 v173, 0xbf1a4643, v68
	v_add_f32_e32 v79, v92, v79
	v_sub_f32_e32 v92, v187, v136
	v_mul_f32_e32 v168, 0x3f3d2fb0, v75
	v_add_f32_e32 v79, v92, v79
	v_sub_f32_e32 v92, v173, v139
	v_mul_f32_e32 v203, 0x3ee437d1, v45
	;; [unrolled: 48-line block ×3, first 2 shown]
	v_add_f32_e32 v79, v92, v79
	v_sub_f32_e32 v92, v167, v116
	v_mul_f32_e32 v215, 0x3dbcf732, v50
	v_add_f32_e32 v119, v92, v79
	v_add_f32_e32 v79, v96, v201
	v_add_f32_e32 v14, v14, v12
	v_mul_f32_e32 v229, 0xbf1a4643, v54
	v_add_f32_e32 v79, v79, v13
	v_add_f32_e32 v92, v86, v215
	v_add_f32_e32 v14, v20, v14
	;; [unrolled: 4-line block ×5, first 2 shown]
	v_mul_f32_e32 v199, 0x3f6eb680, v45
	v_mul_f32_e32 v224, 0x3ee437d1, v73
	v_add_f32_e32 v79, v92, v79
	v_add_f32_e32 v92, v104, v184
	;; [unrolled: 1-line block ×3, first 2 shown]
	v_mul_f32_e32 v213, 0x3f3d2fb0, v50
	v_add_f32_e32 v79, v92, v79
	v_add_f32_e32 v92, v105, v224
	v_mov_b32_e32 v224, v51
	v_add_f32_e32 v51, v198, v199
	v_add_f32_e32 v14, v34, v14
	v_mul_f32_e32 v227, 0x3ee437d1, v54
	v_add_f32_e32 v51, v51, v13
	v_add_f32_e32 v55, v55, v213
	v_add_f32_e32 v14, v16, v14
	v_mul_f32_e32 v241, 0x3dbcf732, v58
	v_add_f32_e32 v51, v55, v51
	v_add_f32_e32 v55, v59, v227
	v_add_f32_e32 v15, v15, v13
	v_add_f32_e32 v14, v18, v14
	v_mul_f32_e32 v189, 0xbe8c1d8e, v62
	v_add_f32_e32 v51, v55, v51
	;; [unrolled: 5-line block ×7, first 2 shown]
	v_add_f32_e32 v92, v106, v222
	v_add_f32_e32 v80, v55, v51
	v_mul_f32_e32 v51, 0x3f6eb680, v44
	v_add_f32_e32 v15, v35, v15
	v_add_f32_e32 v14, v42, v14
	v_mul_f32_e32 v214, 0x3dbcf732, v46
	v_add_f32_e32 v92, v92, v79
	v_sub_f32_e32 v79, v200, v89
	v_sub_f32_e32 v47, v51, v47
	v_mul_f32_e32 v51, 0x3f3d2fb0, v46
	v_add_f32_e32 v15, v17, v15
	v_add_f32_e32 v8, v8, v14
	v_fma_f32 v14, v45, s19, -v251
	v_mul_f32_e32 v226, 0x3ee437d1, v52
	v_mul_f32_e32 v228, 0xbf1a4643, v52
	v_add_f32_e32 v79, v79, v12
	v_sub_f32_e32 v89, v214, v90
	v_add_f32_e32 v47, v47, v12
	v_sub_f32_e32 v51, v51, v53
	v_add_f32_e32 v15, v19, v15
	v_add_f32_e32 v13, v14, v13
	v_fma_f32 v14, v50, s6, -v83
	v_fmac_f32_e32 v76, 0xbf7ba420, v44
	v_mul_f32_e32 v240, 0x3dbcf732, v56
	v_mul_f32_e32 v242, 0xbf7ba420, v56
	v_add_f32_e32 v79, v89, v79
	v_sub_f32_e32 v89, v228, v91
	v_add_f32_e32 v47, v51, v47
	v_sub_f32_e32 v51, v226, v57
	v_add_f32_e32 v15, v25, v15
	v_add_f32_e32 v13, v14, v13
	v_fma_f32 v14, v54, s18, -v252
	v_add_f32_e32 v12, v76, v12
	v_fmac_f32_e32 v81, 0x3f6eb680, v46
	v_mul_f32_e32 v188, 0xbe8c1d8e, v60
	v_mul_f32_e32 v190, 0xbf59a7d5, v60
	v_add_f32_e32 v79, v89, v79
	v_sub_f32_e32 v89, v242, v93
	v_add_f32_e32 v47, v51, v47
	v_sub_f32_e32 v51, v240, v61
	v_add_f32_e32 v15, v27, v15
	v_add_f32_e32 v13, v14, v13
	v_fma_f32 v14, v58, s7, -v253
	v_add_f32_e32 v12, v81, v12
	v_fmac_f32_e32 v88, 0xbf59a7d5, v52
	v_mul_f32_e32 v182, 0xbf1a4643, v64
	v_mul_f32_e32 v210, 0xbe8c1d8e, v64
	v_add_f32_e32 v79, v89, v79
	v_sub_f32_e32 v89, v190, v94
	v_add_f32_e32 v47, v51, v47
	v_sub_f32_e32 v51, v188, v65
	v_add_f32_e32 v15, v37, v15
	v_add_f32_e32 v13, v14, v13
	v_fma_f32 v14, v62, s17, -v254
	v_add_f32_e32 v12, v88, v12
	v_fmac_f32_e32 v100, 0x3f3d2fb0, v56
	v_mul_f32_e32 v223, 0xbf59a7d5, v68
	v_mul_f32_e32 v175, 0x3ee437d1, v68
	v_add_f32_e32 v79, v89, v79
	v_sub_f32_e32 v89, v210, v97
	v_add_f32_e32 v47, v51, v47
	v_sub_f32_e32 v51, v182, v69
	v_add_f32_e32 v15, v39, v15
	v_add_f32_e32 v13, v14, v13
	v_fma_f32 v14, v66, s14, -v127
	v_add_f32_e32 v12, v100, v12
	v_fmac_f32_e32 v255, 0xbf1a4643, v60
	v_mul_f32_e32 v165, 0xbf7ba420, v75
	v_mul_f32_e32 v166, 0x3f6eb680, v75
	v_add_f32_e32 v79, v89, v79
	v_sub_f32_e32 v89, v175, v99
	v_add_f32_e32 v47, v51, v47
	v_sub_f32_e32 v51, v223, v77
	v_add_f32_e32 v15, v41, v15
	v_add_f32_e32 v13, v14, v13
	v_fma_f32 v14, v73, s16, -v137
	v_add_f32_e32 v12, v255, v12
	v_fmac_f32_e32 v87, 0x3ee437d1, v64
	v_add_f32_e32 v79, v89, v79
	v_sub_f32_e32 v89, v166, v102
	v_add_f32_e32 v47, v51, v47
	v_sub_f32_e32 v51, v165, v82
	v_add_f32_e32 v15, v43, v15
	v_add_f32_e32 v13, v14, v13
	v_fma_f32 v14, v78, s15, -v147
	v_add_f32_e32 v12, v87, v12
	v_fmac_f32_e32 v70, 0xbe8c1d8e, v68
	v_add_f32_e32 v91, v89, v79
	v_mov_b32_e32 v223, v212
	v_mov_b32_e32 v222, v95
	v_add_f32_e32 v79, v51, v47
	v_add_f32_e32 v9, v9, v15
	;; [unrolled: 1-line block ×4, first 2 shown]
	v_fmac_f32_e32 v145, 0x3dbcf732, v75
	v_lshlrev_b32_e32 v14, 3, v224
	v_add_f32_e32 v12, v145, v12
	ds_write2_b64 v14, v[8:9], v[79:80] offset1:1
	ds_write2_b64 v14, v[91:92], v[119:120] offset0:2 offset1:3
	ds_write2_b64 v14, v[129:130], v[155:156] offset0:4 offset1:5
	;; [unrolled: 1-line block ×7, first 2 shown]
	ds_write_b64 v14, v[71:72] offset:128
.LBB0_7:
	s_or_b64 exec, exec, s[4:5]
	s_load_dwordx4 s[4:7], s[2:3], 0x0
	s_movk_i32 s2, 0xf1
	v_mul_lo_u16_sdwa v8, v223, s2 dst_sel:DWORD dst_unused:UNUSED_PAD src0_sel:BYTE_0 src1_sel:DWORD
	v_lshrrev_b16_e32 v70, 12, v8
	v_mul_lo_u16_e32 v8, 17, v70
	v_sub_u16_e32 v8, v223, v8
	v_and_b32_e32 v75, 0xff, v8
	v_mov_b32_e32 v8, s12
	s_movk_i32 s2, 0x48
	v_mov_b32_e32 v9, s13
	v_mad_u64_u32 v[8:9], s[2:3], v75, s2, v[8:9]
	s_waitcnt lgkmcnt(0)
	s_barrier
	global_load_dwordx4 v[24:27], v[8:9], off
	global_load_dwordx4 v[20:23], v[8:9], off offset:16
	global_load_dwordx4 v[16:19], v[8:9], off offset:32
	;; [unrolled: 1-line block ×3, first 2 shown]
	global_load_dwordx2 v[73:74], v[8:9], off offset:64
	ds_read2_b64 v[28:31], v85 offset1:187
	v_add_u32_e32 v8, 0xa00, v85
	v_add_u32_e32 v40, 0x2200, v85
	;; [unrolled: 1-line block ×4, first 2 shown]
	ds_read2_b64 v[32:35], v8 offset0:54 offset1:241
	ds_read2_b64 v[36:39], v9 offset0:44 offset1:231
	;; [unrolled: 1-line block ×4, first 2 shown]
	s_mov_b32 s14, 0x3f737871
	s_mov_b32 s2, 0xbf737871
	;; [unrolled: 1-line block ×4, first 2 shown]
	s_waitcnt vmcnt(0) lgkmcnt(0)
	s_barrier
	v_mul_f32_e32 v8, v31, v25
	v_mul_f32_e32 v9, v30, v25
	;; [unrolled: 1-line block ×10, first 2 shown]
	v_fma_f32 v8, v30, v24, -v8
	v_fmac_f32_e32 v9, v31, v24
	v_fma_f32 v30, v32, v26, -v50
	v_fma_f32 v31, v34, v20, -v52
	;; [unrolled: 1-line block ×4, first 2 shown]
	v_mul_f32_e32 v55, v36, v23
	v_mul_f32_e32 v56, v39, v17
	;; [unrolled: 1-line block ×3, first 2 shown]
	v_fmac_f32_e32 v57, v39, v16
	v_fma_f32 v36, v44, v14, -v62
	v_add_f32_e32 v39, v32, v34
	v_mul_f32_e32 v59, v40, v19
	v_mul_f32_e32 v60, v43, v13
	;; [unrolled: 1-line block ×4, first 2 shown]
	v_fmac_f32_e32 v51, v33, v26
	v_fmac_f32_e32 v63, v45, v14
	v_add_f32_e32 v44, v30, v36
	v_fma_f32 v39, -0.5, v39, v28
	v_mul_f32_e32 v65, v46, v74
	v_fmac_f32_e32 v53, v35, v20
	v_fmac_f32_e32 v55, v37, v22
	v_fma_f32 v33, v38, v16, -v56
	v_fmac_f32_e32 v59, v41, v18
	v_fma_f32 v35, v42, v12, -v60
	;; [unrolled: 2-line block ×3, first 2 shown]
	v_add_f32_e32 v38, v28, v30
	v_sub_f32_e32 v40, v51, v63
	v_sub_f32_e32 v42, v30, v32
	;; [unrolled: 1-line block ×5, first 2 shown]
	v_fma_f32 v28, -0.5, v44, v28
	v_mov_b32_e32 v44, v39
	v_sub_f32_e32 v41, v55, v59
	v_add_f32_e32 v42, v42, v43
	v_add_f32_e32 v43, v45, v46
	v_fmac_f32_e32 v39, 0xbf737871, v40
	v_mov_b32_e32 v45, v28
	v_fmac_f32_e32 v44, 0x3f737871, v40
	v_add_f32_e32 v38, v38, v32
	v_fmac_f32_e32 v28, 0x3f737871, v41
	v_fmac_f32_e32 v39, 0xbf167918, v41
	;; [unrolled: 1-line block ×4, first 2 shown]
	v_add_f32_e32 v41, v55, v59
	v_add_f32_e32 v38, v38, v34
	v_fma_f32 v41, -0.5, v41, v29
	v_add_f32_e32 v38, v38, v36
	v_sub_f32_e32 v30, v30, v36
	v_mov_b32_e32 v36, v41
	v_fmac_f32_e32 v39, 0x3e9e377a, v42
	v_fmac_f32_e32 v44, 0x3e9e377a, v42
	;; [unrolled: 1-line block ×3, first 2 shown]
	v_sub_f32_e32 v32, v32, v34
	v_sub_f32_e32 v34, v51, v55
	;; [unrolled: 1-line block ×3, first 2 shown]
	v_fmac_f32_e32 v41, 0x3f737871, v30
	v_fmac_f32_e32 v36, 0xbf167918, v32
	v_add_f32_e32 v34, v34, v42
	v_fmac_f32_e32 v41, 0x3f167918, v32
	v_fmac_f32_e32 v36, 0x3e9e377a, v34
	;; [unrolled: 1-line block ×3, first 2 shown]
	v_add_f32_e32 v34, v51, v63
	v_fmac_f32_e32 v28, 0xbf167918, v40
	v_fmac_f32_e32 v45, 0x3f167918, v40
	v_add_f32_e32 v40, v29, v51
	v_fma_f32 v29, -0.5, v34, v29
	v_mov_b32_e32 v34, v29
	v_fmac_f32_e32 v28, 0x3e9e377a, v43
	v_fmac_f32_e32 v45, 0x3e9e377a, v43
	;; [unrolled: 1-line block ×3, first 2 shown]
	v_sub_f32_e32 v42, v55, v51
	v_sub_f32_e32 v43, v59, v63
	v_fmac_f32_e32 v29, 0xbf737871, v32
	v_add_f32_e32 v32, v33, v35
	v_fmac_f32_e32 v65, v47, v73
	v_fmac_f32_e32 v34, 0xbf167918, v30
	v_add_f32_e32 v42, v42, v43
	v_fmac_f32_e32 v29, 0x3f167918, v30
	v_fma_f32 v32, -0.5, v32, v8
	v_fmac_f32_e32 v34, 0x3e9e377a, v42
	v_fmac_f32_e32 v29, 0x3e9e377a, v42
	v_sub_f32_e32 v42, v53, v65
	v_mov_b32_e32 v43, v32
	v_fmac_f32_e32 v43, 0x3f737871, v42
	v_sub_f32_e32 v46, v57, v61
	v_sub_f32_e32 v47, v31, v33
	;; [unrolled: 1-line block ×3, first 2 shown]
	v_fmac_f32_e32 v32, 0xbf737871, v42
	v_fmac_f32_e32 v43, 0x3f167918, v46
	v_add_f32_e32 v47, v47, v50
	v_fmac_f32_e32 v32, 0xbf167918, v46
	v_fmac_f32_e32 v43, 0x3e9e377a, v47
	;; [unrolled: 1-line block ×3, first 2 shown]
	v_add_f32_e32 v47, v31, v37
	v_add_f32_e32 v30, v8, v31
	v_fmac_f32_e32 v8, -0.5, v47
	v_mov_b32_e32 v47, v8
	v_add_f32_e32 v30, v30, v33
	v_fmac_f32_e32 v47, 0xbf737871, v46
	v_fmac_f32_e32 v8, 0x3f737871, v46
	v_add_f32_e32 v46, v57, v61
	v_add_f32_e32 v30, v30, v35
	v_sub_f32_e32 v50, v33, v31
	v_sub_f32_e32 v51, v35, v37
	v_fma_f32 v46, -0.5, v46, v9
	v_add_f32_e32 v30, v30, v37
	v_fmac_f32_e32 v47, 0x3f167918, v42
	v_add_f32_e32 v50, v50, v51
	v_fmac_f32_e32 v8, 0xbf167918, v42
	v_sub_f32_e32 v31, v31, v37
	v_mov_b32_e32 v37, v46
	v_fmac_f32_e32 v47, 0x3e9e377a, v50
	v_fmac_f32_e32 v8, 0x3e9e377a, v50
	;; [unrolled: 1-line block ×3, first 2 shown]
	v_sub_f32_e32 v33, v33, v35
	v_sub_f32_e32 v35, v53, v57
	;; [unrolled: 1-line block ×3, first 2 shown]
	v_fmac_f32_e32 v46, 0x3f737871, v31
	v_fmac_f32_e32 v37, 0xbf167918, v33
	v_add_f32_e32 v35, v35, v50
	v_fmac_f32_e32 v46, 0x3f167918, v33
	v_fmac_f32_e32 v37, 0x3e9e377a, v35
	;; [unrolled: 1-line block ×3, first 2 shown]
	v_add_f32_e32 v35, v53, v65
	v_add_f32_e32 v42, v9, v53
	v_fmac_f32_e32 v9, -0.5, v35
	v_mov_b32_e32 v35, v9
	v_sub_f32_e32 v50, v57, v53
	v_sub_f32_e32 v51, v61, v65
	v_fmac_f32_e32 v9, 0xbf737871, v33
	v_fmac_f32_e32 v35, 0x3f737871, v33
	v_add_f32_e32 v50, v50, v51
	v_fmac_f32_e32 v9, 0x3f167918, v31
	v_add_f32_e32 v42, v42, v57
	v_fmac_f32_e32 v35, 0xbf167918, v31
	v_fmac_f32_e32 v9, 0x3e9e377a, v50
	v_mul_f32_e32 v31, 0x3f167918, v37
	v_mul_f32_e32 v51, 0x3e9e377a, v8
	v_add_f32_e32 v40, v40, v55
	v_add_f32_e32 v42, v42, v61
	v_fmac_f32_e32 v35, 0x3e9e377a, v50
	v_fmac_f32_e32 v31, 0x3f4f1bbd, v43
	v_fma_f32 v61, v9, s14, -v51
	v_mul_f32_e32 v43, 0xbf167918, v43
	v_mul_f32_e32 v9, 0x3e9e377a, v9
	v_add_f32_e32 v40, v40, v59
	v_mul_f32_e32 v33, 0x3f737871, v35
	v_mul_f32_e32 v51, 0x3f4f1bbd, v32
	v_fmac_f32_e32 v43, 0x3f4f1bbd, v37
	v_mul_f32_e32 v37, 0xbf737871, v47
	v_fma_f32 v8, v8, s2, -v9
	v_mul_f32_e32 v9, 0x3f4f1bbd, v46
	v_add_f32_e32 v40, v40, v63
	v_add_f32_e32 v42, v42, v65
	v_fmac_f32_e32 v33, 0x3e9e377a, v47
	v_fma_f32 v63, v46, s15, -v51
	v_fmac_f32_e32 v37, 0x3e9e377a, v35
	v_add_f32_e32 v57, v29, v8
	v_fma_f32 v9, v32, s3, -v9
	v_sub_f32_e32 v67, v29, v8
	s_movk_i32 s2, 0xaa
	v_mul_u32_u24_e32 v8, 0xaa, v70
	v_add_f32_e32 v50, v38, v30
	v_add_f32_e32 v52, v44, v31
	;; [unrolled: 1-line block ×9, first 2 shown]
	v_sub_f32_e32 v60, v38, v30
	v_sub_f32_e32 v62, v44, v31
	;; [unrolled: 1-line block ×9, first 2 shown]
	v_add_lshl_u32 v88, v8, v75, 3
	v_cmp_gt_u16_e64 s[2:3], s2, v223
	ds_write2_b64 v88, v[50:51], v[52:53] offset1:17
	ds_write2_b64 v88, v[54:55], v[56:57] offset0:34 offset1:51
	ds_write2_b64 v88, v[58:59], v[60:61] offset0:68 offset1:85
	ds_write2_b64 v88, v[62:63], v[64:65] offset0:102 offset1:119
	ds_write2_b64 v88, v[66:67], v[68:69] offset0:136 offset1:153
	s_waitcnt lgkmcnt(0)
	s_barrier
	s_and_saveexec_b64 s[14:15], s[2:3]
	s_cbranch_execz .LBB0_9
; %bb.8:
	v_add_u32_e32 v8, 0x800, v85
	ds_read2_b64 v[54:57], v8 offset0:84 offset1:254
	v_add_u32_e32 v8, 0x1400, v85
	ds_read2_b64 v[58:61], v8 offset0:40 offset1:210
	;; [unrolled: 2-line block ×3, first 2 shown]
	v_add_u32_e32 v8, 0x2800, v85
	ds_read2_b64 v[50:53], v85 offset1:170
	ds_read2_b64 v[66:69], v8 offset0:80 offset1:250
	ds_read_b64 v[48:49], v85 offset:13600
.LBB0_9:
	s_or_b64 exec, exec, s[14:15]
	v_add_u32_e32 v8, 0xffffff56, v223
	v_cndmask_b32_e64 v8, v8, v223, s[2:3]
	v_mul_hi_i32_i24_e32 v9, 0x50, v8
	v_mul_i32_i24_e32 v8, 0x50, v8
	v_mov_b32_e32 v28, s13
	v_add_co_u32_e32 v8, vcc, s12, v8
	v_addc_co_u32_e32 v9, vcc, v28, v9, vcc
	global_load_dwordx4 v[40:43], v[8:9], off offset:1224
	global_load_dwordx4 v[32:35], v[8:9], off offset:1240
	;; [unrolled: 1-line block ×5, first 2 shown]
	s_mov_b32 s13, 0x3f575c64
	s_mov_b32 s12, 0x3ed4b147
	;; [unrolled: 1-line block ×5, first 2 shown]
	s_waitcnt vmcnt(4) lgkmcnt(2)
	v_mul_f32_e32 v8, v53, v41
	v_mul_f32_e32 v9, v52, v41
	;; [unrolled: 1-line block ×4, first 2 shown]
	s_waitcnt vmcnt(2)
	v_mul_f32_e32 v80, v61, v29
	s_waitcnt vmcnt(0) lgkmcnt(0)
	v_mul_f32_e32 v94, v48, v47
	v_fma_f32 v8, v52, v40, -v8
	v_fmac_f32_e32 v9, v53, v40
	v_mul_f32_e32 v76, v57, v33
	v_mul_f32_e32 v77, v56, v33
	;; [unrolled: 1-line block ×4, first 2 shown]
	v_fma_f32 v52, v54, v42, -v70
	v_fmac_f32_e32 v75, v55, v42
	v_fma_f32 v55, v60, v28, -v80
	v_fmac_f32_e32 v94, v49, v46
	v_add_f32_e32 v49, v50, v8
	v_add_f32_e32 v60, v51, v9
	v_mul_f32_e32 v78, v59, v35
	v_mul_f32_e32 v79, v58, v35
	v_fma_f32 v53, v56, v32, -v76
	v_fmac_f32_e32 v77, v57, v32
	v_add_f32_e32 v49, v49, v52
	v_add_f32_e32 v60, v60, v75
	v_fma_f32 v54, v58, v34, -v78
	v_fmac_f32_e32 v79, v59, v34
	v_add_f32_e32 v49, v49, v53
	v_add_f32_e32 v60, v60, v77
	v_mul_f32_e32 v82, v63, v31
	v_mul_f32_e32 v83, v62, v31
	v_fmac_f32_e32 v81, v61, v28
	v_add_f32_e32 v49, v49, v54
	v_add_f32_e32 v60, v60, v79
	v_mul_f32_e32 v84, v65, v37
	v_mul_f32_e32 v87, v64, v37
	v_fma_f32 v56, v62, v30, -v82
	v_fmac_f32_e32 v83, v63, v30
	v_fma_f32 v48, v48, v46, -v93
	v_add_f32_e32 v49, v49, v55
	v_add_f32_e32 v60, v60, v81
	v_mul_f32_e32 v89, v67, v39
	v_mul_f32_e32 v90, v66, v39
	v_fma_f32 v57, v64, v36, -v84
	v_fmac_f32_e32 v87, v65, v36
	v_add_f32_e32 v61, v8, v48
	v_sub_f32_e32 v8, v8, v48
	v_add_f32_e32 v49, v49, v56
	v_add_f32_e32 v60, v60, v83
	v_mul_f32_e32 v91, v69, v45
	v_mul_f32_e32 v92, v68, v45
	v_fma_f32 v58, v66, v38, -v89
	v_fmac_f32_e32 v90, v67, v38
	v_mul_f32_e32 v66, 0xbf68dda4, v8
	v_add_f32_e32 v49, v49, v57
	v_add_f32_e32 v60, v60, v87
	v_fma_f32 v59, v68, v44, -v91
	v_fmac_f32_e32 v92, v69, v44
	v_add_f32_e32 v62, v9, v94
	v_mov_b32_e32 v70, v66
	v_add_f32_e32 v49, v49, v58
	v_add_f32_e32 v60, v60, v90
	v_sub_f32_e32 v9, v9, v94
	v_add_f32_e32 v49, v49, v59
	v_add_f32_e32 v60, v60, v92
	v_fmac_f32_e32 v70, 0x3ed4b147, v62
	v_mul_f32_e32 v63, 0xbf0a6770, v9
	v_mul_f32_e32 v65, 0xbf68dda4, v9
	v_add_f32_e32 v48, v49, v48
	v_add_f32_e32 v49, v60, v94
	;; [unrolled: 1-line block ×3, first 2 shown]
	v_mul_f32_e32 v70, 0xbf7d64f0, v9
	v_mul_f32_e32 v82, 0xbf4178ce, v9
	;; [unrolled: 1-line block ×3, first 2 shown]
	v_fma_f32 v67, v61, s13, -v63
	v_fmac_f32_e32 v63, 0x3f575c64, v61
	v_fma_f32 v69, v61, s12, -v65
	v_fmac_f32_e32 v65, 0x3ed4b147, v61
	;; [unrolled: 2-line block ×5, first 2 shown]
	v_mul_f32_e32 v64, 0xbf0a6770, v8
	v_add_f32_e32 v67, v50, v67
	v_add_f32_e32 v63, v50, v63
	;; [unrolled: 1-line block ×5, first 2 shown]
	v_mul_f32_e32 v78, 0xbf7d64f0, v8
	v_add_f32_e32 v70, v50, v70
	v_add_f32_e32 v84, v50, v84
	v_mul_f32_e32 v89, 0xbf4178ce, v8
	v_add_f32_e32 v82, v50, v82
	v_add_f32_e32 v93, v50, v93
	;; [unrolled: 3-line block ×3, first 2 shown]
	v_sub_f32_e32 v52, v52, v59
	v_sub_f32_e32 v59, v75, v92
	v_mov_b32_e32 v68, v64
	v_mov_b32_e32 v80, v78
	v_mov_b32_e32 v91, v89
	v_mov_b32_e32 v94, v8
	v_mul_f32_e32 v61, 0xbf68dda4, v59
	v_fma_f32 v64, v62, s13, -v64
	v_fmac_f32_e32 v68, 0x3f575c64, v62
	v_fma_f32 v66, v62, s12, -v66
	v_fmac_f32_e32 v80, 0xbe11bafb, v62
	;; [unrolled: 2-line block ×4, first 2 shown]
	v_fma_f32 v8, v62, s16, -v8
	v_fma_f32 v62, v50, s12, -v61
	v_add_f32_e32 v64, v51, v64
	v_add_f32_e32 v68, v51, v68
	;; [unrolled: 1-line block ×11, first 2 shown]
	v_mul_f32_e32 v67, 0xbf68dda4, v52
	v_fmac_f32_e32 v61, 0x3ed4b147, v50
	v_add_f32_e32 v61, v61, v63
	v_fma_f32 v63, v51, s12, -v67
	v_add_f32_e32 v63, v63, v64
	v_mul_f32_e32 v64, 0xbf4178ce, v59
	v_mov_b32_e32 v75, v67
	v_fma_f32 v67, v50, s15, -v64
	v_fmac_f32_e32 v75, 0x3ed4b147, v51
	v_add_f32_e32 v67, v67, v69
	v_mul_f32_e32 v69, 0xbf4178ce, v52
	v_fmac_f32_e32 v64, 0xbf27a4f4, v50
	v_add_f32_e32 v68, v75, v68
	v_mov_b32_e32 v75, v69
	v_add_f32_e32 v64, v64, v65
	v_fma_f32 v65, v51, s15, -v69
	v_fmac_f32_e32 v75, 0xbf27a4f4, v51
	v_add_f32_e32 v65, v65, v66
	v_mul_f32_e32 v66, 0x3e903f40, v59
	v_add_f32_e32 v60, v75, v60
	v_fma_f32 v69, v50, s16, -v66
	v_mul_f32_e32 v75, 0x3e903f40, v52
	v_add_f32_e32 v69, v69, v76
	v_mov_b32_e32 v76, v75
	v_fmac_f32_e32 v66, 0xbf75a155, v50
	v_fmac_f32_e32 v76, 0xbf75a155, v51
	v_add_f32_e32 v66, v66, v70
	v_fma_f32 v70, v51, s16, -v75
	v_mul_f32_e32 v75, 0x3f7d64f0, v59
	v_add_f32_e32 v76, v76, v80
	v_add_f32_e32 v70, v70, v78
	v_fma_f32 v78, v50, s14, -v75
	v_mul_f32_e32 v80, 0x3f7d64f0, v52
	v_fmac_f32_e32 v75, 0xbe11bafb, v50
	v_mul_f32_e32 v59, 0x3f0a6770, v59
	v_mul_f32_e32 v52, 0x3f0a6770, v52
	v_add_f32_e32 v78, v78, v84
	v_mov_b32_e32 v84, v80
	v_add_f32_e32 v75, v75, v82
	v_fma_f32 v80, v51, s14, -v80
	v_fma_f32 v82, v50, s13, -v59
	v_fmac_f32_e32 v59, 0x3f575c64, v50
	v_fma_f32 v50, v51, s13, -v52
	v_add_f32_e32 v80, v80, v89
	v_mov_b32_e32 v89, v52
	v_add_f32_e32 v8, v50, v8
	v_add_f32_e32 v50, v53, v58
	v_sub_f32_e32 v52, v53, v58
	v_sub_f32_e32 v53, v77, v90
	v_mul_f32_e32 v58, 0xbf7d64f0, v53
	v_add_f32_e32 v9, v59, v9
	v_fma_f32 v59, v50, s14, -v58
	v_fmac_f32_e32 v84, 0xbe11bafb, v51
	v_fmac_f32_e32 v89, 0x3f575c64, v51
	v_add_f32_e32 v51, v77, v90
	v_add_f32_e32 v59, v59, v62
	v_mul_f32_e32 v62, 0xbf7d64f0, v52
	v_fmac_f32_e32 v58, 0xbe11bafb, v50
	v_mov_b32_e32 v77, v62
	v_add_f32_e32 v58, v58, v61
	v_fma_f32 v61, v51, s14, -v62
	v_mul_f32_e32 v62, 0x3e903f40, v53
	v_add_f32_e32 v61, v61, v63
	v_fma_f32 v63, v50, s16, -v62
	v_add_f32_e32 v63, v63, v67
	v_mul_f32_e32 v67, 0x3e903f40, v52
	v_fmac_f32_e32 v62, 0xbf75a155, v50
	v_add_f32_e32 v62, v62, v64
	v_fma_f32 v64, v51, s16, -v67
	v_fmac_f32_e32 v77, 0xbe11bafb, v51
	v_add_f32_e32 v64, v64, v65
	v_mul_f32_e32 v65, 0x3f68dda4, v53
	v_add_f32_e32 v68, v77, v68
	v_mov_b32_e32 v77, v67
	v_fma_f32 v67, v50, s12, -v65
	v_fmac_f32_e32 v77, 0xbf75a155, v51
	v_add_f32_e32 v67, v67, v69
	v_mul_f32_e32 v69, 0x3f68dda4, v52
	v_add_f32_e32 v60, v77, v60
	v_mov_b32_e32 v77, v69
	v_fmac_f32_e32 v65, 0x3ed4b147, v50
	v_fmac_f32_e32 v77, 0x3ed4b147, v51
	v_add_f32_e32 v65, v65, v66
	v_fma_f32 v66, v51, s12, -v69
	v_mul_f32_e32 v69, 0xbf0a6770, v53
	v_add_f32_e32 v76, v77, v76
	v_add_f32_e32 v66, v66, v70
	v_fma_f32 v70, v50, s13, -v69
	v_mul_f32_e32 v77, 0xbf0a6770, v52
	v_fmac_f32_e32 v69, 0x3f575c64, v50
	v_mul_f32_e32 v53, 0xbf4178ce, v53
	v_add_f32_e32 v70, v70, v78
	v_mov_b32_e32 v78, v77
	v_add_f32_e32 v69, v69, v75
	v_fma_f32 v75, v51, s13, -v77
	v_fma_f32 v77, v50, s15, -v53
	v_mul_f32_e32 v52, 0xbf4178ce, v52
	v_fmac_f32_e32 v53, 0xbf27a4f4, v50
	v_add_f32_e32 v9, v53, v9
	v_fma_f32 v50, v51, s15, -v52
	v_sub_f32_e32 v53, v79, v87
	v_add_f32_e32 v75, v75, v80
	v_mov_b32_e32 v80, v52
	v_add_f32_e32 v8, v50, v8
	v_add_f32_e32 v50, v54, v57
	v_sub_f32_e32 v52, v54, v57
	v_mul_f32_e32 v54, 0xbf4178ce, v53
	v_fma_f32 v57, v50, s15, -v54
	v_fmac_f32_e32 v78, 0x3f575c64, v51
	v_fmac_f32_e32 v80, 0xbf27a4f4, v51
	v_add_f32_e32 v51, v79, v87
	v_add_f32_e32 v57, v57, v59
	v_mul_f32_e32 v59, 0xbf4178ce, v52
	v_fmac_f32_e32 v54, 0xbf27a4f4, v50
	v_mov_b32_e32 v79, v59
	v_add_f32_e32 v54, v54, v58
	v_fma_f32 v58, v51, s15, -v59
	v_mul_f32_e32 v59, 0x3f7d64f0, v53
	v_add_f32_e32 v58, v58, v61
	v_fma_f32 v61, v50, s14, -v59
	v_fmac_f32_e32 v79, 0xbf27a4f4, v51
	v_add_f32_e32 v61, v61, v63
	v_mul_f32_e32 v63, 0x3f7d64f0, v52
	v_fmac_f32_e32 v59, 0xbe11bafb, v50
	v_add_f32_e32 v68, v79, v68
	v_mov_b32_e32 v79, v63
	v_add_f32_e32 v59, v59, v62
	v_fma_f32 v62, v51, s14, -v63
	v_mul_f32_e32 v63, 0xbf0a6770, v53
	v_add_f32_e32 v62, v62, v64
	v_fma_f32 v64, v50, s13, -v63
	v_add_f32_e32 v64, v64, v67
	v_mul_f32_e32 v67, 0xbf0a6770, v52
	v_fmac_f32_e32 v63, 0x3f575c64, v50
	v_add_f32_e32 v63, v63, v65
	v_fma_f32 v65, v51, s13, -v67
	v_fmac_f32_e32 v79, 0xbe11bafb, v51
	v_add_f32_e32 v65, v65, v66
	v_mul_f32_e32 v66, 0xbe903f40, v53
	v_add_f32_e32 v60, v79, v60
	v_mov_b32_e32 v79, v67
	v_fma_f32 v67, v50, s16, -v66
	v_add_f32_e32 v67, v67, v70
	v_mul_f32_e32 v70, 0xbe903f40, v52
	v_fmac_f32_e32 v66, 0xbf75a155, v50
	v_add_f32_e32 v82, v82, v93
	v_fmac_f32_e32 v79, 0x3f575c64, v51
	v_add_f32_e32 v66, v66, v69
	v_fma_f32 v69, v51, s16, -v70
	v_mul_f32_e32 v53, 0x3f68dda4, v53
	v_mul_f32_e32 v52, 0x3f68dda4, v52
	v_add_f32_e32 v84, v84, v91
	v_add_f32_e32 v89, v89, v94
	;; [unrolled: 1-line block ×4, first 2 shown]
	v_mov_b32_e32 v79, v70
	v_add_f32_e32 v69, v69, v75
	v_fma_f32 v70, v50, s12, -v53
	v_mov_b32_e32 v75, v52
	v_fmac_f32_e32 v53, 0x3ed4b147, v50
	v_add_f32_e32 v78, v78, v84
	v_add_f32_e32 v80, v80, v89
	v_fmac_f32_e32 v79, 0xbf75a155, v51
	v_add_f32_e32 v70, v70, v77
	v_fmac_f32_e32 v75, 0x3ed4b147, v51
	v_add_f32_e32 v77, v53, v9
	v_fma_f32 v9, v51, s12, -v52
	v_add_f32_e32 v82, v81, v83
	v_sub_f32_e32 v81, v81, v83
	v_add_f32_e32 v78, v79, v78
	v_add_f32_e32 v75, v75, v80
	;; [unrolled: 1-line block ×4, first 2 shown]
	v_mul_f32_e32 v8, 0xbe903f40, v81
	v_sub_f32_e32 v84, v55, v56
	v_fma_f32 v9, v80, s16, -v8
	v_fmac_f32_e32 v8, 0xbf75a155, v80
	v_add_f32_e32 v50, v9, v57
	v_mul_f32_e32 v9, 0xbe903f40, v84
	v_add_f32_e32 v8, v8, v54
	v_mul_f32_e32 v54, 0x3f0a6770, v81
	v_mov_b32_e32 v51, v9
	v_fma_f32 v9, v82, s16, -v9
	v_fma_f32 v52, v80, s13, -v54
	v_mul_f32_e32 v55, 0x3f0a6770, v84
	v_fmac_f32_e32 v54, 0x3f575c64, v80
	v_add_f32_e32 v9, v9, v58
	v_mov_b32_e32 v53, v55
	v_add_f32_e32 v58, v54, v59
	v_fma_f32 v54, v82, s13, -v55
	v_mul_f32_e32 v56, 0xbf4178ce, v81
	v_mul_f32_e32 v57, 0xbf4178ce, v84
	v_fmac_f32_e32 v53, 0x3f575c64, v82
	v_add_f32_e32 v59, v54, v62
	v_fma_f32 v54, v80, s15, -v56
	v_mov_b32_e32 v55, v57
	v_fmac_f32_e32 v56, 0xbf27a4f4, v80
	v_fma_f32 v57, v82, s15, -v57
	v_mul_f32_e32 v62, 0x3f68dda4, v81
	v_add_f32_e32 v53, v53, v60
	v_add_f32_e32 v56, v56, v63
	;; [unrolled: 1-line block ×3, first 2 shown]
	v_fma_f32 v60, v80, s12, -v62
	v_mul_f32_e32 v63, 0x3f68dda4, v84
	v_fmac_f32_e32 v62, 0x3ed4b147, v80
	v_mul_f32_e32 v65, 0xbf7d64f0, v84
	v_add_f32_e32 v52, v52, v61
	v_add_f32_e32 v54, v54, v64
	v_mov_b32_e32 v61, v63
	v_add_f32_e32 v66, v62, v66
	v_fma_f32 v62, v82, s12, -v63
	v_mul_f32_e32 v64, 0xbf7d64f0, v81
	v_mov_b32_e32 v63, v65
	v_fmac_f32_e32 v51, 0xbf75a155, v82
	v_fmac_f32_e32 v55, 0xbf27a4f4, v82
	v_add_f32_e32 v60, v60, v67
	v_fmac_f32_e32 v61, 0x3ed4b147, v82
	v_add_f32_e32 v67, v62, v69
	v_fma_f32 v62, v80, s14, -v64
	v_fmac_f32_e32 v63, 0xbe11bafb, v82
	v_fmac_f32_e32 v64, 0xbe11bafb, v80
	v_fma_f32 v65, v82, s14, -v65
	v_add_f32_e32 v51, v51, v68
	v_add_f32_e32 v55, v55, v76
	;; [unrolled: 1-line block ×7, first 2 shown]
	s_and_saveexec_b64 s[12:13], s[2:3]
	s_cbranch_execz .LBB0_11
; %bb.10:
	v_add_u32_e32 v68, 0x800, v85
	ds_write2_b64 v68, v[52:53], v[54:55] offset0:84 offset1:254
	v_add_u32_e32 v68, 0x1400, v85
	ds_write2_b64 v68, v[60:61], v[62:63] offset0:40 offset1:210
	;; [unrolled: 2-line block ×3, first 2 shown]
	v_add_u32_e32 v68, 0x2800, v85
	ds_write2_b64 v85, v[48:49], v[50:51] offset1:170
	ds_write2_b64 v68, v[56:57], v[58:59] offset0:80 offset1:250
	ds_write_b64 v85, v[8:9] offset:13600
.LBB0_11:
	s_or_b64 exec, exec, s[12:13]
	s_waitcnt lgkmcnt(0)
	s_barrier
	s_and_saveexec_b64 s[12:13], s[0:1]
	s_cbranch_execz .LBB0_13
; %bb.12:
	v_mov_b32_e32 v68, s9
	v_add_co_u32_e32 v70, vcc, s8, v85
	v_addc_co_u32_e32 v79, vcc, 0, v68, vcc
	v_add_co_u32_e32 v68, vcc, 0x3a70, v70
	v_addc_co_u32_e32 v69, vcc, 0, v79, vcc
	;; [unrolled: 2-line block ×3, first 2 shown]
	global_load_dwordx2 v[77:78], v[75:76], off offset:2672
	global_load_dwordx2 v[83:84], v[68:69], off offset:880
	;; [unrolled: 1-line block ×5, first 2 shown]
	s_movk_i32 s14, 0x4000
	v_add_co_u32_e32 v68, vcc, s14, v70
	v_addc_co_u32_e32 v69, vcc, 0, v79, vcc
	global_load_dwordx2 v[103:104], v[68:69], off offset:2976
	global_load_dwordx2 v[105:106], v[68:69], off offset:3856
	s_movk_i32 s14, 0x5000
	v_add_co_u32_e32 v68, vcc, s14, v70
	v_addc_co_u32_e32 v69, vcc, 0, v79, vcc
	global_load_dwordx2 v[107:108], v[68:69], off offset:640
	global_load_dwordx2 v[109:110], v[68:69], off offset:1520
	;; [unrolled: 1-line block ×4, first 2 shown]
	s_movk_i32 s14, 0x6000
	v_add_co_u32_e32 v68, vcc, s14, v70
	v_addc_co_u32_e32 v69, vcc, 0, v79, vcc
	global_load_dwordx2 v[115:116], v[68:69], off offset:64
	global_load_dwordx2 v[117:118], v[68:69], off offset:944
	;; [unrolled: 1-line block ×3, first 2 shown]
	ds_read_b64 v[75:76], v85
	global_load_dwordx2 v[121:122], v[68:69], off offset:2704
	global_load_dwordx2 v[123:124], v[68:69], off offset:3584
	v_add_co_u32_e32 v68, vcc, 0x7000, v70
	v_addc_co_u32_e32 v69, vcc, 0, v79, vcc
	global_load_dwordx2 v[68:69], v[68:69], off offset:368
	v_add_u32_e32 v87, 0x800, v85
	v_add_u32_e32 v127, 0x1000, v85
	s_waitcnt vmcnt(16) lgkmcnt(0)
	v_mul_f32_e32 v70, v76, v78
	v_mul_f32_e32 v79, v75, v78
	v_fma_f32 v78, v75, v77, -v70
	v_fmac_f32_e32 v79, v76, v77
	ds_write_b64 v85, v[78:79]
	ds_read2_b64 v[75:78], v85 offset0:110 offset1:220
	v_add_u32_e32 v70, 0x1800, v85
	ds_read2_b64 v[79:82], v87 offset0:74 offset1:184
	ds_read2_b64 v[89:92], v127 offset0:38 offset1:148
	;; [unrolled: 1-line block ×3, first 2 shown]
	s_waitcnt vmcnt(15) lgkmcnt(3)
	v_mul_f32_e32 v125, v76, v84
	v_mul_f32_e32 v126, v75, v84
	s_waitcnt vmcnt(14)
	v_mul_f32_e32 v128, v78, v98
	v_mul_f32_e32 v84, v77, v98
	s_waitcnt vmcnt(13) lgkmcnt(2)
	v_mul_f32_e32 v129, v80, v100
	v_mul_f32_e32 v98, v79, v100
	s_waitcnt vmcnt(12)
	v_mul_f32_e32 v130, v82, v102
	v_mul_f32_e32 v100, v81, v102
	;; [unrolled: 6-line block ×3, first 2 shown]
	v_fma_f32 v125, v75, v83, -v125
	v_fmac_f32_e32 v126, v76, v83
	v_fma_f32 v83, v77, v97, -v128
	v_fmac_f32_e32 v84, v78, v97
	;; [unrolled: 2-line block ×6, first 2 shown]
	ds_write2_b64 v85, v[125:126], v[83:84] offset0:110 offset1:220
	ds_write2_b64 v87, v[97:98], v[99:100] offset0:74 offset1:184
	ds_write2_b64 v127, v[101:102], v[103:104] offset0:38 offset1:148
	v_add_u32_e32 v87, 0x1c00, v85
	ds_read2_b64 v[75:78], v87 offset0:94 offset1:204
	s_waitcnt vmcnt(9) lgkmcnt(4)
	v_mul_f32_e32 v133, v94, v108
	v_mul_f32_e32 v106, v93, v108
	s_waitcnt vmcnt(8)
	v_mul_f32_e32 v79, v96, v110
	v_mul_f32_e32 v80, v95, v110
	v_fma_f32 v105, v93, v107, -v133
	v_fmac_f32_e32 v106, v94, v107
	v_fma_f32 v79, v95, v109, -v79
	v_fmac_f32_e32 v80, v96, v109
	v_add_u32_e32 v89, 0x2400, v85
	ds_write2_b64 v70, v[105:106], v[79:80] offset0:2 offset1:112
	ds_read2_b64 v[79:82], v89 offset0:58 offset1:168
	s_waitcnt vmcnt(7) lgkmcnt(2)
	v_mul_f32_e32 v70, v76, v112
	v_mul_f32_e32 v84, v75, v112
	v_fma_f32 v83, v75, v111, -v70
	v_fmac_f32_e32 v84, v76, v111
	s_waitcnt vmcnt(6)
	v_mul_f32_e32 v70, v78, v114
	v_mul_f32_e32 v76, v77, v114
	v_fma_f32 v75, v77, v113, -v70
	v_fmac_f32_e32 v76, v78, v113
	ds_write2_b64 v87, v[83:84], v[75:76] offset0:94 offset1:204
	s_waitcnt vmcnt(5) lgkmcnt(1)
	v_mul_f32_e32 v70, v80, v116
	v_mul_f32_e32 v84, v79, v116
	v_fma_f32 v83, v79, v115, -v70
	v_fmac_f32_e32 v84, v80, v115
	s_waitcnt vmcnt(4)
	v_mul_f32_e32 v70, v82, v118
	v_add_u32_e32 v87, 0x2c00, v85
	v_mul_f32_e32 v80, v81, v118
	ds_read2_b64 v[75:78], v87 offset0:22 offset1:132
	v_fma_f32 v79, v81, v117, -v70
	v_fmac_f32_e32 v80, v82, v117
	ds_write2_b64 v89, v[83:84], v[79:80] offset0:58 offset1:168
	v_add_u32_e32 v89, 0x3000, v85
	ds_read2_b64 v[79:82], v89 offset0:114 offset1:224
	s_waitcnt vmcnt(3) lgkmcnt(2)
	v_mul_f32_e32 v70, v76, v120
	v_mul_f32_e32 v84, v75, v120
	v_fma_f32 v83, v75, v119, -v70
	v_fmac_f32_e32 v84, v76, v119
	s_waitcnt vmcnt(2)
	v_mul_f32_e32 v70, v78, v122
	v_mul_f32_e32 v76, v77, v122
	v_fma_f32 v75, v77, v121, -v70
	v_fmac_f32_e32 v76, v78, v121
	s_waitcnt vmcnt(1) lgkmcnt(0)
	v_mul_f32_e32 v70, v80, v124
	ds_write2_b64 v87, v[83:84], v[75:76] offset0:22 offset1:132
	v_fma_f32 v75, v79, v123, -v70
	v_mul_f32_e32 v76, v79, v124
	s_waitcnt vmcnt(0)
	v_mul_f32_e32 v70, v82, v69
	v_mul_f32_e32 v78, v81, v69
	v_fmac_f32_e32 v76, v80, v123
	v_fma_f32 v77, v81, v68, -v70
	v_fmac_f32_e32 v78, v82, v68
	ds_write2_b64 v89, v[75:76], v[77:78] offset0:114 offset1:224
.LBB0_13:
	s_or_b64 exec, exec, s[12:13]
	s_waitcnt lgkmcnt(0)
	s_barrier
	s_and_saveexec_b64 s[12:13], s[0:1]
	s_cbranch_execz .LBB0_15
; %bb.14:
	v_add_u32_e32 v0, 0x400, v85
	ds_read2_b64 v[52:55], v0 offset0:92 offset1:202
	v_add_u32_e32 v0, 0xc00, v85
	ds_read2_b64 v[60:63], v0 offset0:56 offset1:166
	;; [unrolled: 2-line block ×6, first 2 shown]
	v_add_u32_e32 v0, 0x3000, v85
	ds_read2_b64 v[48:51], v85 offset1:110
	ds_read2_b64 v[0:3], v0 offset0:4 offset1:114
	ds_read_b64 v[71:72], v85 offset:14080
.LBB0_15:
	s_or_b64 exec, exec, s[12:13]
	s_waitcnt lgkmcnt(0)
	v_sub_f32_e32 v105, v51, v72
	v_add_f32_e32 v89, v71, v50
	v_add_f32_e32 v109, v72, v51
	s_mov_b32 s14, 0xbf59a7d5
	v_mul_f32_e32 v77, 0xbf06c442, v105
	v_sub_f32_e32 v106, v53, v3
	v_mul_f32_e32 v78, 0xbf59a7d5, v109
	v_fma_f32 v68, v89, s14, -v77
	v_add_f32_e32 v90, v2, v52
	v_add_f32_e32 v111, v3, v53
	s_mov_b32 s15, 0x3ee437d1
	v_mul_f32_e32 v79, 0x3f65296c, v106
	v_sub_f32_e32 v92, v50, v71
	v_add_f32_e32 v68, v48, v68
	v_mov_b32_e32 v69, v78
	v_mul_f32_e32 v81, 0x3ee437d1, v111
	v_fma_f32 v70, v90, s15, -v79
	v_fmac_f32_e32 v69, 0xbf06c442, v92
	v_sub_f32_e32 v94, v52, v2
	v_add_f32_e32 v68, v70, v68
	v_mov_b32_e32 v70, v81
	v_sub_f32_e32 v107, v55, v1
	v_add_f32_e32 v69, v49, v69
	v_fmac_f32_e32 v70, 0x3f65296c, v94
	v_add_f32_e32 v91, v0, v54
	v_add_f32_e32 v113, v1, v55
	s_mov_b32 s16, 0x3dbcf732
	v_mul_f32_e32 v80, 0xbf7ee86f, v107
	v_add_f32_e32 v69, v70, v69
	v_mul_f32_e32 v83, 0x3dbcf732, v113
	v_fma_f32 v70, v91, s16, -v80
	v_sub_f32_e32 v96, v54, v0
	v_add_f32_e32 v68, v70, v68
	v_mov_b32_e32 v70, v83
	v_sub_f32_e32 v108, v61, v7
	v_fmac_f32_e32 v70, 0xbf7ee86f, v96
	v_add_f32_e32 v93, v6, v60
	v_add_f32_e32 v117, v7, v61
	v_mul_f32_e32 v82, 0x3f4c4adb, v108
	v_add_f32_e32 v69, v70, v69
	v_mul_f32_e32 v123, 0xbf1a4643, v117
	v_fma_f32 v70, v93, s17, -v82
	v_sub_f32_e32 v98, v60, v6
	v_add_f32_e32 v68, v70, v68
	v_mov_b32_e32 v70, v123
	v_sub_f32_e32 v110, v63, v5
	v_fmac_f32_e32 v70, 0x3f4c4adb, v98
	v_add_f32_e32 v95, v4, v62
	v_add_f32_e32 v119, v5, v63
	s_mov_b32 s19, 0x3f6eb680
	v_mul_f32_e32 v84, 0xbeb8f4ab, v110
	v_add_f32_e32 v69, v70, v69
	v_mul_f32_e32 v125, 0x3f6eb680, v119
	v_fma_f32 v70, v95, s19, -v84
	v_sub_f32_e32 v100, v62, v4
	v_add_f32_e32 v68, v70, v68
	v_mov_b32_e32 v70, v125
	v_sub_f32_e32 v112, v65, v11
	v_fmac_f32_e32 v70, 0xbeb8f4ab, v100
	v_add_f32_e32 v97, v10, v64
	v_add_f32_e32 v120, v11, v65
	s_mov_b32 s18, 0xbf7ba420
	;; [unrolled: 12-line block ×4, first 2 shown]
	v_mul_f32_e32 v128, 0xbf763a35, v118
	v_add_f32_e32 v69, v70, v69
	v_mul_f32_e32 v130, 0xbe8c1d8e, v122
	v_fma_f32 v70, v102, s21, -v128
	v_sub_f32_e32 v104, v56, v58
	v_add_f32_e32 v68, v70, v68
	v_mov_b32_e32 v70, v130
	v_fmac_f32_e32 v70, 0xbf763a35, v104
	v_add_f32_e32 v69, v70, v69
	s_barrier
	s_and_saveexec_b64 s[12:13], s[0:1]
	s_cbranch_execz .LBB0_17
; %bb.16:
	v_mul_f32_e32 v70, 0xbf59a7d5, v89
	v_mul_f32_e32 v131, 0x3ee437d1, v90
	v_add_f32_e32 v70, v70, v77
	v_mul_f32_e32 v133, 0x3dbcf732, v91
	v_add_f32_e32 v70, v48, v70
	v_add_f32_e32 v77, v131, v79
	v_mul_f32_e32 v135, 0xbf1a4643, v93
	v_add_f32_e32 v70, v77, v70
	;; [unrolled: 3-line block ×4, first 2 shown]
	v_add_f32_e32 v77, v137, v84
	v_mul_f32_e32 v87, 0xbf06c442, v92
	v_mul_f32_e32 v141, 0x3f3d2fb0, v99
	v_add_f32_e32 v70, v77, v70
	v_add_f32_e32 v77, v139, v124
	v_mul_f32_e32 v132, 0x3f65296c, v94
	v_mul_f32_e32 v143, 0xbe8c1d8e, v102
	v_sub_f32_e32 v78, v78, v87
	v_add_f32_e32 v70, v77, v70
	v_add_f32_e32 v77, v141, v126
	v_mul_f32_e32 v134, 0xbf7ee86f, v96
	v_add_f32_e32 v78, v49, v78
	v_sub_f32_e32 v81, v81, v132
	v_add_f32_e32 v70, v77, v70
	v_add_f32_e32 v77, v143, v128
	v_mul_f32_e32 v136, 0x3f4c4adb, v98
	v_mul_f32_e32 v115, 0xbf7ba420, v109
	v_add_f32_e32 v78, v81, v78
	v_sub_f32_e32 v81, v83, v134
	v_add_f32_e32 v77, v77, v70
	v_mul_f32_e32 v70, 0xbf1a4643, v109
	v_mul_f32_e32 v138, 0xbeb8f4ab, v100
	v_mov_b32_e32 v75, v115
	v_mul_f32_e32 v116, 0x3f6eb680, v111
	v_add_f32_e32 v78, v81, v78
	v_sub_f32_e32 v81, v123, v136
	v_mov_b32_e32 v79, v70
	v_mul_f32_e32 v87, 0xbe8c1d8e, v111
	v_mul_f32_e32 v140, 0xbe3c28d5, v101
	v_fmac_f32_e32 v75, 0x3e3c28d5, v92
	v_mov_b32_e32 v76, v116
	v_add_f32_e32 v78, v81, v78
	v_sub_f32_e32 v81, v125, v138
	v_fmac_f32_e32 v79, 0x3f4c4adb, v92
	v_mov_b32_e32 v80, v87
	v_add_f32_e32 v75, v49, v75
	v_fmac_f32_e32 v76, 0xbeb8f4ab, v94
	v_mul_f32_e32 v145, 0xbf59a7d5, v113
	v_add_f32_e32 v78, v81, v78
	v_sub_f32_e32 v81, v127, v140
	v_add_f32_e32 v79, v49, v79
	v_fmac_f32_e32 v80, 0xbf763a35, v94
	v_mul_f32_e32 v127, 0x3f6eb680, v113
	v_add_f32_e32 v75, v76, v75
	v_mov_b32_e32 v76, v145
	v_add_f32_e32 v79, v80, v79
	v_mov_b32_e32 v80, v127
	v_fmac_f32_e32 v76, 0x3f06c442, v96
	v_mul_f32_e32 v146, 0x3f3d2fb0, v117
	v_fmac_f32_e32 v80, 0x3eb8f4ab, v96
	v_mul_f32_e32 v128, 0xbf59a7d5, v117
	v_mul_f32_e32 v142, 0x3f2c7751, v103
	v_add_f32_e32 v75, v76, v75
	v_mov_b32_e32 v76, v146
	v_add_f32_e32 v79, v80, v79
	v_mov_b32_e32 v80, v128
	v_fmac_f32_e32 v76, 0xbf2c7751, v98
	v_mul_f32_e32 v147, 0xbf1a4643, v119
	v_add_f32_e32 v78, v81, v78
	v_sub_f32_e32 v81, v129, v142
	v_fmac_f32_e32 v80, 0x3f06c442, v98
	v_mul_f32_e32 v129, 0x3dbcf732, v119
	v_mul_f32_e32 v144, 0xbf763a35, v104
	v_add_f32_e32 v75, v76, v75
	v_mov_b32_e32 v76, v147
	v_add_f32_e32 v79, v80, v79
	v_mov_b32_e32 v80, v129
	v_fmac_f32_e32 v76, 0x3f4c4adb, v100
	v_mul_f32_e32 v148, 0x3ee437d1, v120
	v_add_f32_e32 v78, v81, v78
	v_sub_f32_e32 v81, v130, v144
	v_fmac_f32_e32 v80, 0xbf7ee86f, v100
	v_mul_f32_e32 v130, 0x3f3d2fb0, v120
	v_add_f32_e32 v75, v76, v75
	v_mov_b32_e32 v76, v148
	v_add_f32_e32 v79, v80, v79
	v_mov_b32_e32 v80, v130
	v_fmac_f32_e32 v76, 0xbf65296c, v101
	v_mul_f32_e32 v149, 0xbe8c1d8e, v121
	v_fmac_f32_e32 v80, 0x3f2c7751, v101
	v_mul_f32_e32 v131, 0xbf7ba420, v121
	v_add_f32_e32 v75, v76, v75
	v_mov_b32_e32 v76, v149
	v_add_f32_e32 v79, v80, v79
	v_mov_b32_e32 v80, v131
	v_fmac_f32_e32 v76, 0x3f763a35, v103
	v_mul_f32_e32 v150, 0x3dbcf732, v122
	;; [unrolled: 8-line block ×3, first 2 shown]
	v_fmac_f32_e32 v80, 0xbf65296c, v104
	v_mul_f32_e32 v133, 0xbf4c4adb, v105
	v_add_f32_e32 v76, v76, v75
	v_mov_b32_e32 v75, v151
	v_mul_f32_e32 v152, 0x3eb8f4ab, v106
	v_add_f32_e32 v80, v80, v79
	v_mov_b32_e32 v79, v133
	v_mul_f32_e32 v134, 0x3f763a35, v106
	v_fmac_f32_e32 v75, 0xbf7ba420, v89
	v_mov_b32_e32 v153, v152
	v_add_f32_e32 v78, v81, v78
	v_fmac_f32_e32 v79, 0xbf1a4643, v89
	v_mov_b32_e32 v81, v134
	v_add_f32_e32 v75, v48, v75
	v_fmac_f32_e32 v153, 0x3f6eb680, v90
	v_add_f32_e32 v79, v48, v79
	v_fmac_f32_e32 v81, 0xbe8c1d8e, v90
	v_mul_f32_e32 v135, 0xbeb8f4ab, v107
	v_add_f32_e32 v75, v153, v75
	v_mul_f32_e32 v153, 0xbf06c442, v107
	v_add_f32_e32 v79, v81, v79
	v_mov_b32_e32 v81, v135
	v_mov_b32_e32 v154, v153
	v_fmac_f32_e32 v81, 0x3f6eb680, v91
	v_mul_f32_e32 v136, 0xbf06c442, v108
	v_fmac_f32_e32 v154, 0xbf59a7d5, v91
	v_add_f32_e32 v79, v81, v79
	v_mov_b32_e32 v81, v136
	v_add_f32_e32 v75, v154, v75
	v_mul_f32_e32 v154, 0x3f2c7751, v108
	v_fmac_f32_e32 v81, 0xbf59a7d5, v93
	v_mul_f32_e32 v137, 0x3f7ee86f, v110
	v_mov_b32_e32 v155, v154
	v_add_f32_e32 v79, v81, v79
	v_mov_b32_e32 v81, v137
	v_fmac_f32_e32 v155, 0x3f3d2fb0, v93
	v_fmac_f32_e32 v81, 0x3dbcf732, v95
	v_mul_f32_e32 v138, 0xbf2c7751, v112
	v_add_f32_e32 v75, v155, v75
	v_mul_f32_e32 v155, 0xbf4c4adb, v110
	v_add_f32_e32 v79, v81, v79
	v_mov_b32_e32 v81, v138
	v_mov_b32_e32 v156, v155
	v_fmac_f32_e32 v81, 0x3f3d2fb0, v97
	v_mul_f32_e32 v139, 0xbe3c28d5, v114
	v_fmac_f32_e32 v156, 0xbf1a4643, v95
	v_add_f32_e32 v79, v81, v79
	v_mov_b32_e32 v81, v139
	v_add_f32_e32 v75, v156, v75
	v_mul_f32_e32 v156, 0x3f65296c, v112
	v_fmac_f32_e32 v81, 0xbf7ba420, v99
	v_mul_f32_e32 v140, 0x3f65296c, v118
	v_mov_b32_e32 v157, v156
	v_add_f32_e32 v79, v81, v79
	v_mov_b32_e32 v81, v140
	v_fmac_f32_e32 v157, 0x3ee437d1, v97
	v_fmac_f32_e32 v81, 0x3ee437d1, v102
	v_mul_f32_e32 v141, 0xbe8c1d8e, v109
	v_add_f32_e32 v75, v157, v75
	v_mul_f32_e32 v157, 0xbf763a35, v114
	v_add_f32_e32 v79, v81, v79
	v_mov_b32_e32 v81, v141
	v_mul_f32_e32 v142, 0xbf59a7d5, v111
	v_mov_b32_e32 v158, v157
	v_fmac_f32_e32 v81, 0x3f763a35, v92
	v_mov_b32_e32 v82, v142
	v_fmac_f32_e32 v158, 0xbe8c1d8e, v99
	v_add_f32_e32 v81, v49, v81
	v_fmac_f32_e32 v82, 0xbf06c442, v94
	v_mul_f32_e32 v143, 0x3f3d2fb0, v113
	v_add_f32_e32 v75, v158, v75
	v_mul_f32_e32 v158, 0x3f7ee86f, v118
	v_add_f32_e32 v81, v82, v81
	v_mov_b32_e32 v82, v143
	v_mov_b32_e32 v159, v158
	v_fmac_f32_e32 v82, 0xbf2c7751, v96
	v_mul_f32_e32 v144, 0x3ee437d1, v117
	v_fmac_f32_e32 v159, 0x3dbcf732, v102
	v_add_f32_e32 v81, v82, v81
	v_mov_b32_e32 v82, v144
	v_add_f32_e32 v75, v159, v75
	v_fmac_f32_e32 v82, 0x3f65296c, v98
	v_mul_f32_e32 v159, 0xbf7ba420, v119
	v_add_f32_e32 v81, v82, v81
	v_mov_b32_e32 v82, v159
	v_fmac_f32_e32 v82, 0x3e3c28d5, v100
	v_mul_f32_e32 v160, 0x3dbcf732, v120
	v_add_f32_e32 v81, v82, v81
	v_mov_b32_e32 v82, v160
	;; [unrolled: 4-line block ×5, first 2 shown]
	v_mul_f32_e32 v164, 0x3f06c442, v106
	v_fmac_f32_e32 v81, 0xbe8c1d8e, v89
	v_mov_b32_e32 v83, v164
	v_add_f32_e32 v81, v48, v81
	v_fmac_f32_e32 v83, 0xbf59a7d5, v90
	v_mul_f32_e32 v165, 0x3f2c7751, v107
	v_add_f32_e32 v81, v83, v81
	v_mov_b32_e32 v83, v165
	v_fmac_f32_e32 v83, 0x3f3d2fb0, v91
	v_mul_f32_e32 v166, 0xbf65296c, v108
	v_add_f32_e32 v81, v83, v81
	v_mov_b32_e32 v83, v166
	;; [unrolled: 4-line block ×7, first 2 shown]
	v_mul_f32_e32 v172, 0xbf7ba420, v111
	v_fmac_f32_e32 v83, 0x3f7ee86f, v92
	v_mov_b32_e32 v84, v172
	v_add_f32_e32 v83, v49, v83
	v_fmac_f32_e32 v84, 0x3e3c28d5, v94
	v_mul_f32_e32 v173, 0xbe8c1d8e, v113
	v_add_f32_e32 v51, v51, v49
	v_add_f32_e32 v83, v84, v83
	v_mov_b32_e32 v84, v173
	v_add_f32_e32 v51, v53, v51
	v_fmac_f32_e32 v84, 0xbf763a35, v96
	v_mul_f32_e32 v174, 0x3f6eb680, v117
	v_add_f32_e32 v51, v55, v51
	v_add_f32_e32 v83, v84, v83
	;; [unrolled: 6-line block ×7, first 2 shown]
	v_mov_b32_e32 v83, v179
	v_mul_f32_e32 v180, 0xbe3c28d5, v106
	v_add_f32_e32 v1, v1, v5
	v_fmac_f32_e32 v83, 0x3dbcf732, v89
	v_mov_b32_e32 v123, v180
	v_add_f32_e32 v1, v3, v1
	v_add_f32_e32 v3, v50, v48
	;; [unrolled: 1-line block ×3, first 2 shown]
	v_fmac_f32_e32 v123, 0xbf7ba420, v90
	v_mul_f32_e32 v181, 0x3f763a35, v107
	v_add_f32_e32 v3, v52, v3
	v_add_f32_e32 v83, v123, v83
	v_mov_b32_e32 v123, v181
	v_add_f32_e32 v3, v54, v3
	v_fmac_f32_e32 v123, 0xbe8c1d8e, v91
	v_mul_f32_e32 v182, 0x3eb8f4ab, v108
	v_add_f32_e32 v3, v60, v3
	v_add_f32_e32 v83, v123, v83
	v_mov_b32_e32 v123, v182
	v_add_f32_e32 v3, v62, v3
	;; [unrolled: 6-line block ×6, first 2 shown]
	v_fmac_f32_e32 v123, 0x3f3d2fb0, v102
	v_mul_f32_e32 v187, 0x3ee437d1, v109
	v_add_f32_e32 v0, v0, v3
	v_fmac_f32_e32 v115, 0xbe3c28d5, v92
	v_add_f32_e32 v83, v123, v83
	v_mov_b32_e32 v123, v187
	v_mul_f32_e32 v188, 0xbf1a4643, v111
	v_add_f32_e32 v0, v2, v0
	v_add_f32_e32 v2, v49, v115
	v_fmac_f32_e32 v116, 0x3eb8f4ab, v94
	v_fmac_f32_e32 v123, 0x3f65296c, v92
	v_mov_b32_e32 v124, v188
	v_add_f32_e32 v2, v116, v2
	v_fmac_f32_e32 v145, 0xbf06c442, v96
	v_add_f32_e32 v123, v49, v123
	v_fmac_f32_e32 v124, 0x3f4c4adb, v94
	v_mul_f32_e32 v189, 0xbf7ba420, v113
	v_add_f32_e32 v2, v145, v2
	v_fmac_f32_e32 v146, 0x3f2c7751, v98
	v_add_f32_e32 v123, v124, v123
	v_mov_b32_e32 v124, v189
	v_add_f32_e32 v2, v146, v2
	v_fmac_f32_e32 v147, 0xbf4c4adb, v100
	v_fmac_f32_e32 v124, 0xbe3c28d5, v96
	v_mul_f32_e32 v190, 0xbe8c1d8e, v117
	v_add_f32_e32 v2, v147, v2
	v_fmac_f32_e32 v148, 0x3f65296c, v101
	v_add_f32_e32 v123, v124, v123
	v_mov_b32_e32 v124, v190
	v_add_f32_e32 v2, v148, v2
	v_fmac_f32_e32 v149, 0xbf763a35, v103
	v_fmac_f32_e32 v124, 0xbf763a35, v98
	v_mul_f32_e32 v191, 0x3f3d2fb0, v119
	v_add_f32_e32 v2, v149, v2
	v_fmac_f32_e32 v150, 0x3f7ee86f, v104
	v_add_f32_e32 v123, v124, v123
	v_mov_b32_e32 v124, v191
	v_add_f32_e32 v3, v150, v2
	v_fma_f32 v2, v89, s18, -v151
	v_fmac_f32_e32 v124, 0xbf2c7751, v100
	v_mul_f32_e32 v192, 0x3f6eb680, v120
	v_add_f32_e32 v2, v48, v2
	v_fma_f32 v4, v90, s19, -v152
	v_add_f32_e32 v123, v124, v123
	v_mov_b32_e32 v124, v192
	v_add_f32_e32 v2, v4, v2
	v_fma_f32 v4, v91, s14, -v153
	v_fmac_f32_e32 v124, 0x3eb8f4ab, v101
	v_mul_f32_e32 v193, 0x3dbcf732, v121
	v_add_f32_e32 v2, v4, v2
	v_fma_f32 v4, v93, s20, -v154
	v_add_f32_e32 v123, v124, v123
	v_mov_b32_e32 v124, v193
	v_add_f32_e32 v2, v4, v2
	v_fma_f32 v4, v95, s17, -v155
	v_fmac_f32_e32 v124, 0x3f7ee86f, v103
	v_mul_f32_e32 v194, 0xbf59a7d5, v122
	v_add_f32_e32 v2, v4, v2
	v_fma_f32 v4, v97, s15, -v156
	v_add_f32_e32 v123, v124, v123
	v_mov_b32_e32 v124, v194
	v_add_f32_e32 v2, v4, v2
	v_fma_f32 v4, v99, s21, -v157
	v_fmac_f32_e32 v124, 0x3f06c442, v104
	v_mul_f32_e32 v195, 0xbf65296c, v105
	v_add_f32_e32 v2, v4, v2
	v_fma_f32 v4, v102, s16, -v158
	v_fmac_f32_e32 v70, 0xbf4c4adb, v92
	v_add_f32_e32 v124, v124, v123
	v_mov_b32_e32 v123, v195
	v_mul_f32_e32 v196, 0xbf4c4adb, v106
	v_add_f32_e32 v2, v4, v2
	v_add_f32_e32 v4, v49, v70
	v_fmac_f32_e32 v87, 0x3f763a35, v94
	v_fmac_f32_e32 v123, 0x3ee437d1, v89
	v_mov_b32_e32 v125, v196
	v_add_f32_e32 v4, v87, v4
	v_fmac_f32_e32 v127, 0xbeb8f4ab, v96
	v_add_f32_e32 v123, v48, v123
	v_fmac_f32_e32 v125, 0xbf1a4643, v90
	v_mul_f32_e32 v197, 0x3e3c28d5, v107
	v_add_f32_e32 v4, v127, v4
	v_fmac_f32_e32 v128, 0xbf06c442, v98
	v_add_f32_e32 v123, v125, v123
	v_mov_b32_e32 v125, v197
	v_add_f32_e32 v4, v128, v4
	v_fmac_f32_e32 v129, 0x3f7ee86f, v100
	v_fmac_f32_e32 v125, 0xbf7ba420, v91
	v_mul_f32_e32 v198, 0x3f763a35, v108
	v_add_f32_e32 v4, v129, v4
	v_fmac_f32_e32 v130, 0xbf2c7751, v101
	v_add_f32_e32 v123, v125, v123
	v_mov_b32_e32 v125, v198
	v_add_f32_e32 v4, v130, v4
	v_fmac_f32_e32 v131, 0xbe3c28d5, v103
	v_fmac_f32_e32 v125, 0xbe8c1d8e, v93
	v_mul_f32_e32 v199, 0x3f2c7751, v110
	v_add_f32_e32 v4, v131, v4
	v_fmac_f32_e32 v132, 0x3f65296c, v104
	v_add_f32_e32 v123, v125, v123
	v_mov_b32_e32 v125, v199
	v_add_f32_e32 v5, v132, v4
	v_fma_f32 v4, v89, s17, -v133
	v_fmac_f32_e32 v125, 0x3f3d2fb0, v95
	v_mul_f32_e32 v200, 0xbeb8f4ab, v112
	v_add_f32_e32 v4, v48, v4
	v_fma_f32 v6, v90, s21, -v134
	v_add_f32_e32 v123, v125, v123
	v_mov_b32_e32 v125, v200
	v_add_f32_e32 v4, v6, v4
	v_fma_f32 v6, v91, s19, -v135
	v_fmac_f32_e32 v125, 0x3f6eb680, v97
	v_mul_f32_e32 v201, 0xbf7ee86f, v114
	v_add_f32_e32 v4, v6, v4
	v_fma_f32 v6, v93, s14, -v136
	v_add_f32_e32 v123, v125, v123
	v_mov_b32_e32 v125, v201
	v_add_f32_e32 v4, v6, v4
	v_fma_f32 v6, v95, s16, -v137
	v_fmac_f32_e32 v125, 0x3dbcf732, v99
	v_mul_f32_e32 v202, 0xbf06c442, v118
	v_add_f32_e32 v4, v6, v4
	v_fma_f32 v6, v97, s20, -v138
	v_add_f32_e32 v123, v125, v123
	v_mov_b32_e32 v125, v202
	v_add_f32_e32 v4, v6, v4
	v_fma_f32 v6, v99, s18, -v139
	v_fmac_f32_e32 v125, 0xbf59a7d5, v102
	v_mul_f32_e32 v203, 0x3f3d2fb0, v109
	v_add_f32_e32 v4, v6, v4
	v_fma_f32 v6, v102, s15, -v140
	v_fmac_f32_e32 v141, 0xbf763a35, v92
	v_add_f32_e32 v123, v125, v123
	v_mov_b32_e32 v125, v203
	v_mul_f32_e32 v204, 0x3dbcf732, v111
	v_add_f32_e32 v4, v6, v4
	v_add_f32_e32 v6, v49, v141
	v_fmac_f32_e32 v142, 0x3f06c442, v94
	v_fmac_f32_e32 v125, 0x3f2c7751, v92
	v_mov_b32_e32 v126, v204
	v_add_f32_e32 v6, v142, v6
	v_fmac_f32_e32 v143, 0x3f2c7751, v96
	v_add_f32_e32 v125, v49, v125
	v_fmac_f32_e32 v126, 0x3f7ee86f, v94
	v_mul_f32_e32 v205, 0xbf1a4643, v113
	v_add_f32_e32 v6, v143, v6
	v_fmac_f32_e32 v144, 0xbf65296c, v98
	v_add_f32_e32 v125, v126, v125
	v_mov_b32_e32 v126, v205
	v_add_f32_e32 v6, v144, v6
	v_fmac_f32_e32 v159, 0xbe3c28d5, v100
	v_fmac_f32_e32 v126, 0x3f4c4adb, v96
	v_mul_f32_e32 v206, 0xbf7ba420, v117
	v_add_f32_e32 v6, v159, v6
	v_fmac_f32_e32 v160, 0x3f7ee86f, v101
	v_add_f32_e32 v125, v126, v125
	v_mov_b32_e32 v126, v206
	v_add_f32_e32 v6, v160, v6
	v_fmac_f32_e32 v161, 0xbeb8f4ab, v103
	v_fmac_f32_e32 v126, 0x3e3c28d5, v98
	v_mul_f32_e32 v207, 0xbf59a7d5, v119
	v_add_f32_e32 v6, v161, v6
	v_fmac_f32_e32 v162, 0xbf4c4adb, v104
	v_add_f32_e32 v125, v126, v125
	v_mov_b32_e32 v126, v207
	v_add_f32_e32 v7, v162, v6
	v_fma_f32 v6, v89, s21, -v163
	v_fmac_f32_e32 v126, 0xbf06c442, v100
	v_mul_f32_e32 v208, 0xbe8c1d8e, v120
	v_add_f32_e32 v6, v48, v6
	v_fma_f32 v8, v90, s14, -v164
	v_add_f32_e32 v125, v126, v125
	v_mov_b32_e32 v126, v208
	v_add_f32_e32 v6, v8, v6
	v_fma_f32 v8, v91, s20, -v165
	v_fmac_f32_e32 v126, 0xbf763a35, v101
	v_mul_f32_e32 v209, 0x3ee437d1, v121
	v_add_f32_e32 v6, v8, v6
	v_fma_f32 v8, v93, s15, -v166
	v_add_f32_e32 v125, v126, v125
	v_mov_b32_e32 v126, v209
	v_add_f32_e32 v6, v8, v6
	v_fma_f32 v8, v95, s18, -v167
	v_fmac_f32_e32 v126, 0xbf65296c, v103
	v_mul_f32_e32 v210, 0x3f6eb680, v122
	v_add_f32_e32 v6, v8, v6
	v_fma_f32 v8, v97, s16, -v168
	v_add_f32_e32 v125, v126, v125
	v_mov_b32_e32 v126, v210
	v_add_f32_e32 v6, v8, v6
	v_fma_f32 v8, v99, s19, -v169
	v_fmac_f32_e32 v126, 0xbeb8f4ab, v104
	v_mul_f32_e32 v211, 0xbf2c7751, v105
	v_add_f32_e32 v6, v8, v6
	v_fma_f32 v8, v102, s17, -v170
	v_fmac_f32_e32 v171, 0xbf7ee86f, v92
	v_add_f32_e32 v126, v126, v125
	v_mov_b32_e32 v125, v211
	v_mul_f32_e32 v212, 0xbf7ee86f, v106
	v_add_f32_e32 v6, v8, v6
	v_add_f32_e32 v8, v49, v171
	v_fmac_f32_e32 v172, 0xbe3c28d5, v94
	v_fmac_f32_e32 v125, 0x3f3d2fb0, v89
	v_mov_b32_e32 v213, v212
	v_add_f32_e32 v8, v172, v8
	v_fmac_f32_e32 v173, 0x3f763a35, v96
	v_add_f32_e32 v125, v48, v125
	v_fmac_f32_e32 v213, 0x3dbcf732, v90
	;; [unrolled: 2-line block ×3, first 2 shown]
	v_add_f32_e32 v125, v213, v125
	v_mul_f32_e32 v213, 0xbf4c4adb, v107
	v_add_f32_e32 v8, v174, v8
	v_fmac_f32_e32 v175, 0xbf65296c, v100
	v_mov_b32_e32 v214, v213
	v_add_f32_e32 v8, v175, v8
	v_fmac_f32_e32 v176, 0xbf06c442, v101
	v_fmac_f32_e32 v214, 0xbf1a4643, v91
	v_add_f32_e32 v8, v176, v8
	v_fmac_f32_e32 v177, 0x3f4c4adb, v103
	v_add_f32_e32 v125, v214, v125
	v_mul_f32_e32 v214, 0xbe3c28d5, v108
	v_add_f32_e32 v8, v177, v8
	v_fmac_f32_e32 v178, 0x3f2c7751, v104
	v_mov_b32_e32 v215, v214
	v_add_f32_e32 v9, v178, v8
	v_fma_f32 v8, v89, s16, -v179
	v_fmac_f32_e32 v215, 0xbf7ba420, v93
	v_add_f32_e32 v8, v48, v8
	v_fma_f32 v10, v90, s18, -v180
	v_add_f32_e32 v125, v215, v125
	v_mul_f32_e32 v215, 0x3f06c442, v110
	v_add_f32_e32 v8, v10, v8
	v_fma_f32 v10, v91, s21, -v181
	v_mov_b32_e32 v216, v215
	v_add_f32_e32 v8, v10, v8
	v_fma_f32 v10, v93, s19, -v182
	v_fmac_f32_e32 v216, 0xbf59a7d5, v95
	v_add_f32_e32 v8, v10, v8
	v_fma_f32 v10, v95, s15, -v183
	v_add_f32_e32 v125, v216, v125
	v_mul_f32_e32 v216, 0x3f763a35, v112
	v_add_f32_e32 v8, v10, v8
	v_fma_f32 v10, v97, s14, -v184
	v_mov_b32_e32 v217, v216
	v_add_f32_e32 v8, v10, v8
	v_fma_f32 v10, v99, s17, -v185
	v_fmac_f32_e32 v217, 0xbe8c1d8e, v97
	v_add_f32_e32 v8, v10, v8
	v_fma_f32 v10, v102, s20, -v186
	v_fmac_f32_e32 v187, 0xbf65296c, v92
	v_add_f32_e32 v125, v217, v125
	v_mul_f32_e32 v217, 0x3f65296c, v114
	v_add_f32_e32 v8, v10, v8
	v_add_f32_e32 v10, v49, v187
	v_fmac_f32_e32 v188, 0xbf4c4adb, v94
	v_mov_b32_e32 v218, v217
	v_add_f32_e32 v10, v188, v10
	v_fmac_f32_e32 v189, 0x3e3c28d5, v96
	v_fmac_f32_e32 v218, 0x3ee437d1, v99
	v_add_f32_e32 v10, v189, v10
	v_fmac_f32_e32 v190, 0x3f763a35, v98
	v_add_f32_e32 v125, v218, v125
	v_mul_f32_e32 v218, 0x3eb8f4ab, v118
	v_add_f32_e32 v10, v190, v10
	v_fmac_f32_e32 v191, 0x3f2c7751, v100
	v_mov_b32_e32 v219, v218
	v_add_f32_e32 v10, v191, v10
	v_fmac_f32_e32 v192, 0xbeb8f4ab, v101
	v_fmac_f32_e32 v219, 0x3f6eb680, v102
	v_add_f32_e32 v10, v192, v10
	v_fmac_f32_e32 v193, 0xbf7ee86f, v103
	v_add_f32_e32 v125, v219, v125
	v_mul_f32_e32 v219, 0x3f6eb680, v109
	v_add_f32_e32 v10, v193, v10
	v_fmac_f32_e32 v194, 0xbf06c442, v104
	v_mov_b32_e32 v109, v219
	v_mul_f32_e32 v111, 0x3f3d2fb0, v111
	v_add_f32_e32 v11, v194, v10
	v_fma_f32 v10, v89, s15, -v195
	v_fmac_f32_e32 v109, 0x3eb8f4ab, v92
	v_mov_b32_e32 v220, v111
	v_add_f32_e32 v10, v48, v10
	v_fma_f32 v50, v90, s17, -v196
	v_add_f32_e32 v109, v49, v109
	v_fmac_f32_e32 v220, 0x3f2c7751, v94
	v_mul_f32_e32 v113, 0x3ee437d1, v113
	v_add_f32_e32 v10, v50, v10
	v_fma_f32 v50, v91, s18, -v197
	v_add_f32_e32 v109, v220, v109
	v_mov_b32_e32 v220, v113
	v_add_f32_e32 v10, v50, v10
	v_fma_f32 v50, v93, s21, -v198
	v_fmac_f32_e32 v220, 0x3f65296c, v96
	v_mul_f32_e32 v117, 0x3dbcf732, v117
	v_add_f32_e32 v10, v50, v10
	v_fma_f32 v50, v95, s20, -v199
	v_add_f32_e32 v109, v220, v109
	v_mov_b32_e32 v220, v117
	v_add_f32_e32 v10, v50, v10
	v_fma_f32 v50, v97, s19, -v200
	;; [unrolled: 8-line block ×3, first 2 shown]
	v_fmac_f32_e32 v203, 0xbf2c7751, v92
	v_fmac_f32_e32 v220, 0x3f763a35, v100
	v_mul_f32_e32 v120, 0xbf1a4643, v120
	v_add_f32_e32 v10, v50, v10
	v_add_f32_e32 v50, v49, v203
	v_fmac_f32_e32 v204, 0xbf7ee86f, v94
	v_add_f32_e32 v109, v220, v109
	v_mov_b32_e32 v220, v120
	v_add_f32_e32 v50, v204, v50
	v_fmac_f32_e32 v205, 0xbf4c4adb, v96
	v_fmac_f32_e32 v220, 0x3f4c4adb, v101
	v_mul_f32_e32 v121, 0xbf59a7d5, v121
	v_add_f32_e32 v50, v205, v50
	v_fmac_f32_e32 v206, 0xbe3c28d5, v98
	v_add_f32_e32 v109, v220, v109
	v_mov_b32_e32 v220, v121
	v_add_f32_e32 v50, v206, v50
	v_fmac_f32_e32 v207, 0x3f06c442, v100
	v_fmac_f32_e32 v220, 0x3f06c442, v103
	v_mul_f32_e32 v122, 0xbf7ba420, v122
	;; [unrolled: 8-line block ×3, first 2 shown]
	v_add_f32_e32 v50, v209, v50
	v_fmac_f32_e32 v210, 0x3eb8f4ab, v104
	v_add_f32_e32 v109, v220, v109
	v_mov_b32_e32 v220, v105
	v_mul_f32_e32 v106, 0xbf2c7751, v106
	v_add_f32_e32 v51, v210, v50
	v_fma_f32 v50, v89, s20, -v211
	v_fmac_f32_e32 v220, 0x3f6eb680, v89
	v_mov_b32_e32 v221, v106
	v_add_f32_e32 v50, v48, v50
	v_fma_f32 v52, v90, s16, -v212
	v_add_f32_e32 v220, v48, v220
	v_fmac_f32_e32 v221, 0x3f3d2fb0, v90
	v_mul_f32_e32 v107, 0xbf65296c, v107
	v_add_f32_e32 v50, v52, v50
	v_fma_f32 v52, v91, s17, -v213
	v_add_f32_e32 v220, v221, v220
	v_mov_b32_e32 v221, v107
	v_add_f32_e32 v50, v52, v50
	v_fma_f32 v52, v93, s18, -v214
	v_fmac_f32_e32 v221, 0x3ee437d1, v91
	v_add_f32_e32 v50, v52, v50
	v_fma_f32 v52, v95, s14, -v215
	v_add_f32_e32 v220, v221, v220
	v_mul_f32_e32 v221, 0xbf7ee86f, v108
	v_add_f32_e32 v50, v52, v50
	v_fma_f32 v52, v97, s21, -v216
	v_mov_b32_e32 v108, v221
	v_add_f32_e32 v50, v52, v50
	v_fma_f32 v52, v99, s15, -v217
	v_fmac_f32_e32 v108, 0x3dbcf732, v93
	v_mul_f32_e32 v110, 0xbf763a35, v110
	v_add_f32_e32 v50, v52, v50
	v_fma_f32 v52, v102, s19, -v218
	v_add_f32_e32 v108, v108, v220
	v_mov_b32_e32 v220, v110
	v_add_f32_e32 v50, v52, v50
	v_fma_f32 v52, v89, s19, -v105
	v_fmac_f32_e32 v220, 0xbe8c1d8e, v95
	v_mul_f32_e32 v112, 0xbf4c4adb, v112
	v_fmac_f32_e32 v219, 0xbeb8f4ab, v92
	v_add_f32_e32 v48, v48, v52
	v_fma_f32 v52, v90, s20, -v106
	v_add_f32_e32 v108, v220, v108
	v_mov_b32_e32 v220, v112
	v_add_f32_e32 v49, v49, v219
	v_fmac_f32_e32 v111, 0xbf2c7751, v94
	v_add_f32_e32 v48, v52, v48
	v_fma_f32 v52, v91, s15, -v107
	v_fmac_f32_e32 v220, 0xbf1a4643, v97
	v_mul_f32_e32 v114, 0xbf06c442, v114
	v_add_f32_e32 v49, v111, v49
	v_fmac_f32_e32 v113, 0xbf65296c, v96
	v_add_f32_e32 v48, v52, v48
	v_fma_f32 v52, v93, s16, -v221
	v_add_f32_e32 v108, v220, v108
	v_mov_b32_e32 v220, v114
	v_add_f32_e32 v49, v113, v49
	v_fmac_f32_e32 v117, 0xbf7ee86f, v98
	v_add_f32_e32 v48, v52, v48
	v_fma_f32 v52, v95, s21, -v110
	v_fmac_f32_e32 v220, 0xbf59a7d5, v99
	v_mul_f32_e32 v118, 0xbe3c28d5, v118
	v_add_f32_e32 v49, v117, v49
	v_fmac_f32_e32 v119, 0xbf763a35, v100
	v_add_f32_e32 v48, v52, v48
	v_fma_f32 v52, v97, s17, -v112
	v_add_f32_e32 v108, v220, v108
	v_mov_b32_e32 v220, v118
	v_add_f32_e32 v49, v119, v49
	v_fmac_f32_e32 v120, 0xbf4c4adb, v101
	v_add_f32_e32 v48, v52, v48
	v_fma_f32 v52, v99, s14, -v114
	v_fmac_f32_e32 v220, 0xbf7ba420, v102
	v_add_f32_e32 v49, v120, v49
	v_fmac_f32_e32 v121, 0xbf06c442, v103
	v_add_f32_e32 v48, v52, v48
	v_fma_f32 v52, v102, s18, -v118
	v_add_f32_e32 v108, v220, v108
	v_add_f32_e32 v1, v72, v1
	;; [unrolled: 1-line block ×4, first 2 shown]
	v_fmac_f32_e32 v122, 0xbe3c28d5, v104
	v_add_f32_e32 v48, v52, v48
	v_lshlrev_b32_e32 v52, 3, v224
	v_add_f32_e32 v49, v122, v49
	ds_write2_b64 v52, v[0:1], v[108:109] offset1:1
	ds_write2_b64 v52, v[125:126], v[123:124] offset0:2 offset1:3
	ds_write2_b64 v52, v[83:84], v[81:82] offset0:4 offset1:5
	;; [unrolled: 1-line block ×7, first 2 shown]
	ds_write_b64 v52, v[48:49] offset:128
.LBB0_17:
	s_or_b64 exec, exec, s[12:13]
	s_waitcnt lgkmcnt(0)
	s_barrier
	ds_read2_b64 v[0:3], v85 offset1:187
	v_add_u32_e32 v4, 0xa00, v85
	ds_read2_b64 v[4:7], v4 offset0:54 offset1:241
	v_add_u32_e32 v8, 0x1600, v85
	ds_read2_b64 v[8:11], v8 offset0:44 offset1:231
	v_add_u32_e32 v48, 0x2200, v85
	s_waitcnt lgkmcnt(2)
	v_mul_f32_e32 v56, v25, v3
	ds_read2_b64 v[48:51], v48 offset0:34 offset1:221
	v_fmac_f32_e32 v56, v24, v2
	v_mul_f32_e32 v2, v25, v2
	v_add_u32_e32 v52, 0x2e00, v85
	v_fma_f32 v24, v24, v3, -v2
	s_waitcnt lgkmcnt(2)
	v_mul_f32_e32 v2, v27, v5
	ds_read2_b64 v[52:55], v52 offset0:24 offset1:211
	v_fmac_f32_e32 v2, v26, v4
	v_mul_f32_e32 v3, v27, v4
	v_mul_f32_e32 v4, v21, v7
	v_fma_f32 v3, v26, v5, -v3
	v_fmac_f32_e32 v4, v20, v6
	v_mul_f32_e32 v5, v21, v6
	s_waitcnt lgkmcnt(2)
	v_mul_f32_e32 v6, v23, v9
	v_fma_f32 v5, v20, v7, -v5
	v_fmac_f32_e32 v6, v22, v8
	v_mul_f32_e32 v7, v23, v8
	v_mul_f32_e32 v8, v17, v11
	v_fma_f32 v7, v22, v9, -v7
	v_fmac_f32_e32 v8, v16, v10
	v_mul_f32_e32 v9, v17, v10
	s_waitcnt lgkmcnt(1)
	v_mul_f32_e32 v10, v19, v49
	v_fma_f32 v9, v16, v11, -v9
	v_fmac_f32_e32 v10, v18, v48
	v_mul_f32_e32 v16, v13, v51
	v_mul_f32_e32 v13, v13, v50
	;; [unrolled: 1-line block ×3, first 2 shown]
	v_fmac_f32_e32 v16, v12, v50
	v_fma_f32 v12, v12, v51, -v13
	s_waitcnt lgkmcnt(0)
	v_mul_f32_e32 v13, v15, v53
	v_mul_f32_e32 v15, v15, v52
	v_add_f32_e32 v19, v6, v10
	v_fmac_f32_e32 v13, v14, v52
	v_fma_f32 v14, v14, v53, -v15
	v_fma_f32 v19, -0.5, v19, v0
	v_fma_f32 v11, v18, v49, -v11
	v_sub_f32_e32 v20, v3, v14
	v_mov_b32_e32 v21, v19
	v_fmac_f32_e32 v21, 0xbf737871, v20
	v_sub_f32_e32 v22, v7, v11
	v_sub_f32_e32 v23, v2, v6
	;; [unrolled: 1-line block ×3, first 2 shown]
	v_fmac_f32_e32 v19, 0x3f737871, v20
	v_fmac_f32_e32 v21, 0xbf167918, v22
	v_add_f32_e32 v23, v23, v25
	v_fmac_f32_e32 v19, 0x3f167918, v22
	v_fmac_f32_e32 v21, 0x3e9e377a, v23
	v_fmac_f32_e32 v19, 0x3e9e377a, v23
	v_add_f32_e32 v23, v2, v13
	v_fma_f32 v23, -0.5, v23, v0
	v_mov_b32_e32 v25, v23
	v_add_f32_e32 v18, v0, v2
	v_fmac_f32_e32 v25, 0x3f737871, v22
	v_sub_f32_e32 v0, v6, v2
	v_sub_f32_e32 v26, v10, v13
	v_fmac_f32_e32 v23, 0xbf737871, v22
	v_fmac_f32_e32 v25, 0xbf167918, v20
	v_add_f32_e32 v0, v0, v26
	v_fmac_f32_e32 v23, 0x3f167918, v20
	v_fmac_f32_e32 v25, 0x3e9e377a, v0
	;; [unrolled: 1-line block ×3, first 2 shown]
	v_add_f32_e32 v0, v1, v3
	v_add_f32_e32 v0, v0, v7
	;; [unrolled: 1-line block ×7, first 2 shown]
	v_fma_f32 v22, -0.5, v0, v1
	v_add_f32_e32 v18, v18, v13
	v_sub_f32_e32 v0, v2, v13
	v_mov_b32_e32 v13, v22
	v_fmac_f32_e32 v13, 0x3f737871, v0
	v_sub_f32_e32 v2, v6, v10
	v_sub_f32_e32 v6, v3, v7
	;; [unrolled: 1-line block ×3, first 2 shown]
	v_fmac_f32_e32 v22, 0xbf737871, v0
	v_fmac_f32_e32 v13, 0x3f167918, v2
	v_add_f32_e32 v6, v6, v10
	v_fmac_f32_e32 v22, 0xbf167918, v2
	v_fmac_f32_e32 v13, 0x3e9e377a, v6
	;; [unrolled: 1-line block ×3, first 2 shown]
	v_add_f32_e32 v6, v3, v14
	v_fma_f32 v26, -0.5, v6, v1
	v_mov_b32_e32 v27, v26
	v_fmac_f32_e32 v27, 0xbf737871, v2
	v_fmac_f32_e32 v26, 0x3f737871, v2
	;; [unrolled: 1-line block ×4, first 2 shown]
	v_add_f32_e32 v0, v56, v4
	v_mul_f32_e32 v15, v74, v55
	v_add_f32_e32 v0, v0, v8
	v_fmac_f32_e32 v15, v73, v54
	v_add_f32_e32 v0, v0, v16
	v_mul_f32_e32 v17, v74, v54
	v_add_f32_e32 v6, v0, v15
	v_add_f32_e32 v0, v8, v16
	v_fma_f32 v17, v73, v55, -v17
	v_sub_f32_e32 v1, v7, v3
	v_sub_f32_e32 v3, v11, v14
	v_fma_f32 v7, -0.5, v0, v56
	v_add_f32_e32 v1, v1, v3
	v_sub_f32_e32 v0, v5, v17
	v_mov_b32_e32 v3, v7
	v_fmac_f32_e32 v27, 0x3e9e377a, v1
	v_fmac_f32_e32 v26, 0x3e9e377a, v1
	;; [unrolled: 1-line block ×3, first 2 shown]
	v_sub_f32_e32 v1, v9, v12
	v_sub_f32_e32 v2, v4, v8
	;; [unrolled: 1-line block ×3, first 2 shown]
	v_fmac_f32_e32 v7, 0x3f737871, v0
	v_fmac_f32_e32 v3, 0xbf167918, v1
	v_add_f32_e32 v2, v2, v10
	v_fmac_f32_e32 v7, 0x3f167918, v1
	v_fmac_f32_e32 v3, 0x3e9e377a, v2
	;; [unrolled: 1-line block ×3, first 2 shown]
	v_add_f32_e32 v2, v4, v15
	v_fmac_f32_e32 v56, -0.5, v2
	v_mov_b32_e32 v11, v56
	v_fmac_f32_e32 v11, 0x3f737871, v1
	v_fmac_f32_e32 v56, 0xbf737871, v1
	;; [unrolled: 1-line block ×4, first 2 shown]
	v_add_f32_e32 v0, v24, v5
	v_add_f32_e32 v0, v0, v9
	;; [unrolled: 1-line block ×5, first 2 shown]
	v_sub_f32_e32 v2, v8, v4
	v_sub_f32_e32 v10, v16, v15
	v_fma_f32 v14, -0.5, v0, v24
	v_add_f32_e32 v2, v2, v10
	v_sub_f32_e32 v0, v4, v15
	v_mov_b32_e32 v15, v14
	v_fmac_f32_e32 v11, 0x3e9e377a, v2
	v_fmac_f32_e32 v56, 0x3e9e377a, v2
	;; [unrolled: 1-line block ×3, first 2 shown]
	v_sub_f32_e32 v1, v8, v16
	v_sub_f32_e32 v2, v5, v9
	;; [unrolled: 1-line block ×3, first 2 shown]
	v_fmac_f32_e32 v14, 0xbf737871, v0
	v_fmac_f32_e32 v15, 0x3f167918, v1
	v_add_f32_e32 v2, v2, v4
	v_fmac_f32_e32 v14, 0xbf167918, v1
	v_fmac_f32_e32 v15, 0x3e9e377a, v2
	;; [unrolled: 1-line block ×3, first 2 shown]
	v_add_f32_e32 v2, v5, v17
	v_fmac_f32_e32 v24, -0.5, v2
	v_mov_b32_e32 v16, v24
	v_fmac_f32_e32 v16, 0xbf737871, v1
	v_sub_f32_e32 v2, v9, v5
	v_sub_f32_e32 v4, v12, v17
	v_fmac_f32_e32 v24, 0x3f737871, v1
	v_fmac_f32_e32 v16, 0x3f167918, v0
	v_add_f32_e32 v2, v2, v4
	v_fmac_f32_e32 v24, 0xbf167918, v0
	v_fmac_f32_e32 v16, 0x3e9e377a, v2
	;; [unrolled: 1-line block ×3, first 2 shown]
	v_mul_f32_e32 v12, 0xbf167918, v15
	v_mul_f32_e32 v17, 0xbf737871, v16
	;; [unrolled: 1-line block ×8, first 2 shown]
	v_fmac_f32_e32 v12, 0x3f4f1bbd, v3
	v_fmac_f32_e32 v17, 0x3e9e377a, v11
	;; [unrolled: 1-line block ×8, first 2 shown]
	v_add_f32_e32 v0, v18, v6
	v_add_f32_e32 v2, v21, v12
	;; [unrolled: 1-line block ×10, first 2 shown]
	v_sub_f32_e32 v6, v18, v6
	v_sub_f32_e32 v12, v21, v12
	;; [unrolled: 1-line block ×10, first 2 shown]
	s_barrier
	ds_write2_b64 v88, v[0:1], v[2:3] offset1:17
	ds_write2_b64 v88, v[8:9], v[10:11] offset0:34 offset1:51
	ds_write2_b64 v88, v[4:5], v[6:7] offset0:68 offset1:85
	;; [unrolled: 1-line block ×4, first 2 shown]
	s_waitcnt lgkmcnt(0)
	s_barrier
	s_and_saveexec_b64 s[12:13], s[2:3]
	s_cbranch_execz .LBB0_19
; %bb.18:
	v_add_u32_e32 v4, 0x800, v85
	ds_read2_b64 v[8:11], v4 offset0:84 offset1:254
	v_add_u32_e32 v4, 0x1400, v85
	v_add_u32_e32 v12, 0x1e00, v85
	;; [unrolled: 1-line block ×3, first 2 shown]
	ds_read2_b64 v[0:3], v85 offset1:170
	ds_read2_b64 v[4:7], v4 offset0:40 offset1:210
	ds_read2_b64 v[12:15], v12 offset0:60 offset1:230
	;; [unrolled: 1-line block ×3, first 2 shown]
	ds_read_b64 v[68:69], v85 offset:13600
.LBB0_19:
	s_or_b64 exec, exec, s[12:13]
	s_and_saveexec_b64 s[12:13], s[2:3]
	s_cbranch_execz .LBB0_21
; %bb.20:
	s_waitcnt lgkmcnt(4)
	v_mul_f32_e32 v20, v41, v3
	v_fmac_f32_e32 v20, v40, v2
	s_waitcnt lgkmcnt(0)
	v_mul_f32_e32 v21, v47, v69
	v_mul_f32_e32 v2, v41, v2
	v_fmac_f32_e32 v21, v46, v68
	v_fma_f32 v25, v40, v3, -v2
	v_mul_f32_e32 v27, v43, v9
	v_mul_f32_e32 v40, v45, v19
	v_sub_f32_e32 v22, v20, v21
	v_mul_f32_e32 v24, v47, v68
	v_fmac_f32_e32 v27, v42, v8
	v_fmac_f32_e32 v40, v44, v18
	v_mul_f32_e32 v3, v45, v18
	v_mul_f32_e32 v23, 0xbf7d64f0, v22
	v_fma_f32 v24, v46, v69, -v24
	v_sub_f32_e32 v41, v27, v40
	v_fma_f32 v18, v44, v19, -v3
	v_mul_f32_e32 v3, v43, v8
	v_add_f32_e32 v26, v24, v25
	v_mov_b32_e32 v2, v23
	v_mul_f32_e32 v46, 0x3e903f40, v41
	v_fma_f32 v19, v42, v9, -v3
	v_fmac_f32_e32 v2, 0xbe11bafb, v26
	v_add_f32_e32 v42, v18, v19
	v_mov_b32_e32 v3, v46
	v_add_f32_e32 v2, v1, v2
	v_fmac_f32_e32 v3, 0xbf75a155, v42
	v_mul_f32_e32 v43, v33, v11
	v_mul_f32_e32 v44, v39, v17
	v_add_f32_e32 v2, v3, v2
	v_fmac_f32_e32 v43, v32, v10
	v_fmac_f32_e32 v44, v38, v16
	v_mul_f32_e32 v3, v39, v16
	v_sub_f32_e32 v45, v43, v44
	v_fma_f32 v38, v38, v17, -v3
	v_mul_f32_e32 v3, v33, v10
	v_mul_f32_e32 v47, 0x3f68dda4, v45
	v_fma_f32 v32, v32, v11, -v3
	v_add_f32_e32 v16, v38, v32
	v_mov_b32_e32 v3, v47
	v_fmac_f32_e32 v3, 0x3ed4b147, v16
	v_mul_f32_e32 v33, v35, v5
	v_mul_f32_e32 v39, v37, v15
	v_add_f32_e32 v2, v3, v2
	v_fmac_f32_e32 v33, v34, v4
	v_fmac_f32_e32 v39, v36, v14
	v_mul_f32_e32 v3, v37, v14
	v_sub_f32_e32 v48, v33, v39
	v_fma_f32 v36, v36, v15, -v3
	v_mul_f32_e32 v3, v35, v4
	v_mul_f32_e32 v17, 0xbf0a6770, v48
	v_fma_f32 v34, v34, v5, -v3
	v_add_f32_e32 v35, v36, v34
	v_mov_b32_e32 v3, v17
	;; [unrolled: 14-line block ×3, first 2 shown]
	v_sub_f32_e32 v51, v25, v24
	s_mov_b32 s2, 0xbe11bafb
	v_fmac_f32_e32 v3, 0xbf27a4f4, v29
	v_add_f32_e32 v31, v21, v20
	v_mul_f32_e32 v12, 0xbf7d64f0, v51
	v_sub_f32_e32 v53, v19, v18
	s_mov_b32 s3, 0xbf75a155
	v_add_f32_e32 v3, v3, v2
	v_fma_f32 v2, v31, s2, -v12
	v_add_f32_e32 v52, v40, v27
	v_mul_f32_e32 v15, 0x3e903f40, v53
	v_sub_f32_e32 v55, v32, v38
	s_mov_b32 s14, 0x3ed4b147
	v_add_f32_e32 v2, v0, v2
	v_fma_f32 v4, v52, s3, -v15
	;; [unrolled: 6-line block ×4, first 2 shown]
	v_add_f32_e32 v60, v49, v37
	v_mul_f32_e32 v62, 0xbf4178ce, v61
	v_add_f32_e32 v2, v4, v2
	v_fma_f32 v4, v60, s16, -v62
	v_mul_f32_e32 v10, 0xbf4178ce, v22
	v_add_f32_e32 v2, v4, v2
	v_mov_b32_e32 v4, v10
	v_mul_f32_e32 v11, 0x3f7d64f0, v41
	v_fmac_f32_e32 v4, 0xbf27a4f4, v26
	v_mov_b32_e32 v5, v11
	v_fma_f32 v10, v26, s16, -v10
	v_add_f32_e32 v4, v1, v4
	v_fmac_f32_e32 v5, 0xbe11bafb, v42
	v_mul_f32_e32 v13, 0xbf0a6770, v45
	v_add_f32_e32 v10, v1, v10
	v_fma_f32 v11, v42, s2, -v11
	v_add_f32_e32 v4, v5, v4
	v_mov_b32_e32 v5, v13
	v_add_f32_e32 v10, v11, v10
	v_fma_f32 v11, v16, s15, -v13
	v_fma_f32 v13, v26, s2, -v23
	v_add_f32_e32 v13, v1, v13
	v_fma_f32 v23, v42, s3, -v46
	v_add_f32_e32 v13, v23, v13
	;; [unrolled: 2-line block ×4, first 2 shown]
	v_fma_f32 v14, v29, s16, -v14
	v_fmac_f32_e32 v12, 0xbe11bafb, v31
	v_mul_f32_e32 v23, 0x3ed4b147, v26
	v_add_f32_e32 v13, v14, v13
	v_add_f32_e32 v12, v0, v12
	v_fmac_f32_e32 v15, 0xbf75a155, v52
	v_mov_b32_e32 v14, v23
	v_mul_f32_e32 v46, 0xbf27a4f4, v42
	v_add_f32_e32 v12, v15, v12
	v_fmac_f32_e32 v14, 0x3f68dda4, v22
	v_mov_b32_e32 v15, v46
	v_add_f32_e32 v14, v1, v14
	v_fmac_f32_e32 v15, 0x3f4178ce, v41
	v_mul_f32_e32 v47, 0xbf75a155, v16
	v_fmac_f32_e32 v56, 0x3ed4b147, v54
	v_add_f32_e32 v14, v15, v14
	v_mov_b32_e32 v15, v47
	v_add_f32_e32 v12, v56, v12
	v_fmac_f32_e32 v15, 0xbe903f40, v45
	v_mul_f32_e32 v56, 0xbe11bafb, v35
	v_fmac_f32_e32 v59, 0x3f575c64, v57
	v_add_f32_e32 v14, v15, v14
	v_mov_b32_e32 v15, v56
	v_fmac_f32_e32 v5, 0x3f575c64, v16
	v_mul_f32_e32 v63, 0xbe903f40, v48
	v_add_f32_e32 v12, v59, v12
	v_fmac_f32_e32 v15, 0xbf7d64f0, v48
	v_mul_f32_e32 v59, 0x3f575c64, v29
	v_add_f32_e32 v4, v5, v4
	v_mov_b32_e32 v5, v63
	v_fmac_f32_e32 v62, 0xbf27a4f4, v60
	v_add_f32_e32 v14, v15, v14
	v_mov_b32_e32 v15, v59
	v_fmac_f32_e32 v5, 0xbf75a155, v35
	v_mul_f32_e32 v64, 0x3f68dda4, v50
	v_add_f32_e32 v12, v62, v12
	v_fmac_f32_e32 v15, 0xbf0a6770, v50
	v_mul_f32_e32 v62, 0xbf68dda4, v51
	v_add_f32_e32 v4, v5, v4
	v_mov_b32_e32 v5, v64
	v_add_f32_e32 v10, v11, v10
	v_fma_f32 v11, v35, s3, -v63
	v_add_f32_e32 v15, v15, v14
	v_mov_b32_e32 v14, v62
	v_mul_f32_e32 v63, 0xbf4178ce, v53
	v_fmac_f32_e32 v5, 0x3ed4b147, v29
	v_mul_f32_e32 v65, 0xbf4178ce, v51
	v_fmac_f32_e32 v14, 0x3ed4b147, v31
	v_mov_b32_e32 v17, v63
	v_add_f32_e32 v5, v5, v4
	v_fma_f32 v4, v31, s16, -v65
	v_mul_f32_e32 v66, 0x3f7d64f0, v53
	v_add_f32_e32 v10, v11, v10
	v_fma_f32 v11, v29, s14, -v64
	v_add_f32_e32 v14, v0, v14
	v_fmac_f32_e32 v17, 0xbf27a4f4, v52
	v_mul_f32_e32 v64, 0x3e903f40, v55
	v_add_f32_e32 v4, v0, v4
	v_fma_f32 v6, v52, s2, -v66
	v_mul_f32_e32 v67, 0xbf0a6770, v55
	v_fmac_f32_e32 v65, 0xbf27a4f4, v31
	v_add_f32_e32 v14, v17, v14
	v_mov_b32_e32 v17, v64
	v_add_f32_e32 v4, v6, v4
	v_fma_f32 v6, v54, s15, -v67
	v_mul_f32_e32 v68, 0xbe903f40, v58
	v_add_f32_e32 v11, v11, v10
	v_add_f32_e32 v10, v0, v65
	v_fmac_f32_e32 v17, 0xbf75a155, v54
	v_mul_f32_e32 v65, 0x3f7d64f0, v58
	v_add_f32_e32 v4, v6, v4
	v_fma_f32 v6, v57, s3, -v68
	v_mul_f32_e32 v69, 0x3f68dda4, v61
	v_fmac_f32_e32 v66, 0xbe11bafb, v52
	v_add_f32_e32 v14, v17, v14
	v_mov_b32_e32 v17, v65
	v_add_f32_e32 v4, v6, v4
	v_fma_f32 v6, v60, s14, -v69
	v_mul_f32_e32 v8, 0xbe903f40, v22
	v_add_f32_e32 v10, v66, v10
	v_fmac_f32_e32 v17, 0xbe11bafb, v57
	v_mul_f32_e32 v66, 0x3f0a6770, v61
	v_add_f32_e32 v4, v6, v4
	v_mov_b32_e32 v6, v8
	v_mul_f32_e32 v9, 0x3f0a6770, v41
	v_add_f32_e32 v14, v17, v14
	v_mov_b32_e32 v17, v66
	v_fmac_f32_e32 v6, 0xbf75a155, v26
	v_mov_b32_e32 v7, v9
	v_fma_f32 v8, v26, s3, -v8
	v_fmac_f32_e32 v17, 0x3f575c64, v60
	v_mul_f32_e32 v26, 0x3f575c64, v26
	v_fmac_f32_e32 v7, 0x3f575c64, v42
	v_fma_f32 v9, v42, s15, -v9
	v_fmac_f32_e32 v67, 0x3f575c64, v54
	v_add_f32_e32 v14, v17, v14
	v_mov_b32_e32 v17, v26
	v_mul_f32_e32 v42, 0x3ed4b147, v42
	v_add_f32_e32 v25, v25, v1
	v_add_f32_e32 v6, v1, v6
	v_mul_f32_e32 v70, 0xbf4178ce, v45
	v_add_f32_e32 v10, v67, v10
	v_fmac_f32_e32 v17, 0x3f0a6770, v22
	v_mov_b32_e32 v67, v42
	v_add_f32_e32 v19, v19, v25
	v_add_f32_e32 v6, v7, v6
	v_mov_b32_e32 v7, v70
	v_add_f32_e32 v17, v1, v17
	v_fmac_f32_e32 v67, 0x3f68dda4, v41
	v_add_f32_e32 v19, v32, v19
	v_fmac_f32_e32 v7, 0xbf27a4f4, v16
	v_mul_f32_e32 v71, 0x3f68dda4, v48
	v_add_f32_e32 v8, v1, v8
	v_add_f32_e32 v17, v67, v17
	v_mul_f32_e32 v67, 0xbe11bafb, v16
	v_add_f32_e32 v19, v34, v19
	v_add_f32_e32 v6, v7, v6
	v_mov_b32_e32 v7, v71
	v_add_f32_e32 v8, v9, v8
	v_fma_f32 v9, v16, s16, -v70
	v_mov_b32_e32 v16, v67
	v_add_f32_e32 v19, v28, v19
	v_fmac_f32_e32 v7, 0x3ed4b147, v35
	v_mul_f32_e32 v72, 0xbf7d64f0, v50
	v_add_f32_e32 v8, v9, v8
	v_fma_f32 v9, v35, s14, -v71
	v_fmac_f32_e32 v16, 0x3f7d64f0, v45
	v_mul_f32_e32 v35, 0xbf27a4f4, v35
	v_add_f32_e32 v19, v30, v19
	v_add_f32_e32 v6, v7, v6
	v_mov_b32_e32 v7, v72
	v_add_f32_e32 v16, v16, v17
	v_mov_b32_e32 v17, v35
	v_add_f32_e32 v19, v36, v19
	v_fmac_f32_e32 v7, 0xbe11bafb, v29
	v_add_f32_e32 v8, v9, v8
	v_fma_f32 v9, v29, s2, -v72
	v_fmac_f32_e32 v17, 0x3f4178ce, v48
	v_mul_f32_e32 v29, 0xbf75a155, v29
	v_add_f32_e32 v19, v38, v19
	v_add_f32_e32 v16, v17, v16
	v_mov_b32_e32 v17, v29
	v_add_f32_e32 v18, v18, v19
	v_mul_f32_e32 v73, 0xbe903f40, v51
	v_fmac_f32_e32 v17, 0x3e903f40, v50
	v_mul_f32_e32 v51, 0xbf0a6770, v51
	v_add_f32_e32 v19, v24, v18
	v_add_f32_e32 v18, v0, v20
	;; [unrolled: 1-line block ×3, first 2 shown]
	v_fma_f32 v6, v31, s3, -v73
	v_mul_f32_e32 v74, 0x3f0a6770, v53
	v_fmac_f32_e32 v68, 0xbf75a155, v57
	v_add_f32_e32 v17, v17, v16
	v_mov_b32_e32 v16, v51
	v_mul_f32_e32 v53, 0xbf68dda4, v53
	v_add_f32_e32 v18, v27, v18
	v_add_f32_e32 v6, v0, v6
	v_fma_f32 v75, v52, s15, -v74
	v_add_f32_e32 v10, v68, v10
	v_fmac_f32_e32 v16, 0x3f575c64, v31
	v_mov_b32_e32 v68, v53
	v_add_f32_e32 v18, v43, v18
	v_add_f32_e32 v6, v75, v6
	v_mul_f32_e32 v75, 0xbf4178ce, v55
	v_add_f32_e32 v16, v0, v16
	v_fmac_f32_e32 v68, 0x3ed4b147, v52
	v_mul_f32_e32 v55, 0xbf7d64f0, v55
	v_add_f32_e32 v18, v33, v18
	v_fma_f32 v76, v54, s16, -v75
	v_add_f32_e32 v16, v68, v16
	v_mov_b32_e32 v68, v55
	v_add_f32_e32 v18, v37, v18
	v_fmac_f32_e32 v23, 0xbf68dda4, v22
	v_add_f32_e32 v6, v76, v6
	v_mul_f32_e32 v76, 0x3f68dda4, v58
	v_fmac_f32_e32 v68, 0xbe11bafb, v54
	v_mul_f32_e32 v58, 0xbf4178ce, v58
	v_add_f32_e32 v18, v49, v18
	v_add_f32_e32 v20, v1, v23
	v_fmac_f32_e32 v46, 0xbf4178ce, v41
	v_fma_f32 v77, v57, s14, -v76
	v_add_f32_e32 v16, v68, v16
	v_mov_b32_e32 v68, v58
	v_add_f32_e32 v18, v39, v18
	v_add_f32_e32 v20, v46, v20
	v_fmac_f32_e32 v47, 0x3e903f40, v45
	v_add_f32_e32 v6, v77, v6
	v_mul_f32_e32 v77, 0xbf7d64f0, v61
	v_fmac_f32_e32 v73, 0xbf75a155, v31
	v_fmac_f32_e32 v68, 0xbf27a4f4, v57
	v_mul_f32_e32 v61, 0xbe903f40, v61
	v_add_f32_e32 v18, v44, v18
	v_add_f32_e32 v20, v47, v20
	v_fmac_f32_e32 v56, 0x3f7d64f0, v48
	v_add_f32_e32 v9, v9, v8
	v_add_f32_e32 v8, v0, v73
	v_fmac_f32_e32 v74, 0x3f575c64, v52
	v_add_f32_e32 v16, v68, v16
	v_mov_b32_e32 v68, v61
	v_add_f32_e32 v18, v40, v18
	v_add_f32_e32 v20, v56, v20
	v_fmac_f32_e32 v59, 0x3f0a6770, v50
	v_add_f32_e32 v8, v74, v8
	v_fmac_f32_e32 v75, 0xbf27a4f4, v54
	v_fmac_f32_e32 v68, 0xbf75a155, v60
	v_add_f32_e32 v18, v21, v18
	v_add_f32_e32 v21, v59, v20
	v_fma_f32 v20, v31, s14, -v62
	v_add_f32_e32 v8, v75, v8
	v_fmac_f32_e32 v76, 0x3ed4b147, v57
	v_add_f32_e32 v16, v68, v16
	v_add_f32_e32 v20, v0, v20
	v_fma_f32 v23, v52, s16, -v63
	v_fmac_f32_e32 v26, 0xbf0a6770, v22
	v_fma_f32 v22, v31, s15, -v51
	v_fma_f32 v78, v60, s2, -v77
	v_add_f32_e32 v8, v76, v8
	v_fmac_f32_e32 v77, 0xbe11bafb, v60
	v_fmac_f32_e32 v69, 0x3ed4b147, v60
	v_add_f32_e32 v20, v23, v20
	v_fma_f32 v23, v54, s3, -v64
	v_add_f32_e32 v1, v1, v26
	v_fmac_f32_e32 v42, 0xbf68dda4, v41
	v_add_f32_e32 v0, v0, v22
	v_fma_f32 v22, v52, s14, -v53
	ds_write2_b64 v85, v[18:19], v[16:17] offset1:170
	v_add_u32_e32 v16, 0x800, v85
	v_add_f32_e32 v8, v77, v8
	v_add_f32_e32 v10, v69, v10
	;; [unrolled: 1-line block ×3, first 2 shown]
	v_fma_f32 v23, v57, s2, -v65
	v_add_f32_e32 v1, v42, v1
	v_fmac_f32_e32 v67, 0xbf7d64f0, v45
	v_add_f32_e32 v0, v22, v0
	v_fma_f32 v22, v54, s2, -v55
	ds_write2_b64 v16, v[14:15], v[12:13] offset0:84 offset1:254
	v_add_u32_e32 v12, 0x1400, v85
	v_add_f32_e32 v6, v78, v6
	v_add_f32_e32 v20, v23, v20
	v_fma_f32 v23, v60, s15, -v66
	v_add_f32_e32 v1, v67, v1
	v_fmac_f32_e32 v35, 0xbf4178ce, v48
	v_add_f32_e32 v0, v22, v0
	v_fma_f32 v22, v57, s16, -v58
	ds_write2_b64 v12, v[10:11], v[8:9] offset0:40 offset1:210
	v_add_u32_e32 v8, 0x1e00, v85
	v_add_f32_e32 v20, v23, v20
	v_add_f32_e32 v1, v35, v1
	v_fmac_f32_e32 v29, 0xbe903f40, v50
	v_add_f32_e32 v0, v22, v0
	v_fma_f32 v22, v60, s3, -v61
	ds_write2_b64 v8, v[6:7], v[4:5] offset0:60 offset1:230
	v_add_u32_e32 v4, 0x2800, v85
	v_add_f32_e32 v1, v29, v1
	v_add_f32_e32 v0, v22, v0
	ds_write2_b64 v4, v[2:3], v[20:21] offset0:80 offset1:250
	ds_write_b64 v85, v[0:1] offset:13600
.LBB0_21:
	s_or_b64 exec, exec, s[12:13]
	s_waitcnt lgkmcnt(0)
	s_barrier
	s_and_b64 exec, exec, s[0:1]
	s_cbranch_execz .LBB0_23
; %bb.22:
	global_load_dwordx2 v[0:1], v85, s[8:9]
	ds_read_b64 v[2:3], v85
	v_mad_u64_u32 v[4:5], s[0:1], s6, v222, 0
	v_mad_u64_u32 v[6:7], s[0:1], s4, v223, 0
	s_mov_b32 s0, 0xfa401186
	s_mov_b32 s1, 0x3f4185e2
	v_mad_u64_u32 v[8:9], s[2:3], s7, v222, v[5:6]
	v_mov_b32_e32 v11, s11
	v_mad_u64_u32 v[9:10], s[2:3], s5, v223, v[7:8]
	s_mul_i32 s3, s5, 0x370
	s_mul_hi_u32 s5, s4, 0x370
	v_mov_b32_e32 v7, v9
	v_lshlrev_b64 v[6:7], 3, v[6:7]
	s_mul_i32 s2, s4, 0x370
	s_add_i32 s3, s5, s3
	s_movk_i32 s4, 0x1000
	s_waitcnt vmcnt(0) lgkmcnt(0)
	v_mul_f32_e32 v5, v3, v1
	v_mul_f32_e32 v1, v2, v1
	v_fmac_f32_e32 v5, v2, v0
	v_fma_f32 v2, v0, v3, -v1
	v_cvt_f64_f32_e32 v[0:1], v5
	v_cvt_f64_f32_e32 v[2:3], v2
	v_mov_b32_e32 v5, v8
	v_lshlrev_b64 v[4:5], 3, v[4:5]
	v_mul_f64 v[0:1], v[0:1], s[0:1]
	v_mul_f64 v[2:3], v[2:3], s[0:1]
	v_add_co_u32_e32 v4, vcc, s10, v4
	v_addc_co_u32_e32 v5, vcc, v11, v5, vcc
	v_add_co_u32_e32 v4, vcc, v4, v6
	v_cvt_f32_f64_e32 v0, v[0:1]
	v_cvt_f32_f64_e32 v1, v[2:3]
	v_addc_co_u32_e32 v5, vcc, v5, v7, vcc
	global_store_dwordx2 v[4:5], v[0:1], off
	global_load_dwordx2 v[6:7], v85, s[8:9] offset:880
	ds_read2_b64 v[0:3], v85 offset0:110 offset1:220
	v_add_co_u32_e32 v4, vcc, s2, v4
	s_waitcnt vmcnt(0) lgkmcnt(0)
	v_mul_f32_e32 v8, v1, v7
	v_mul_f32_e32 v7, v0, v7
	v_fmac_f32_e32 v8, v0, v6
	v_fma_f32 v6, v6, v1, -v7
	v_cvt_f64_f32_e32 v[0:1], v8
	v_cvt_f64_f32_e32 v[6:7], v6
	v_mov_b32_e32 v8, s3
	v_addc_co_u32_e32 v5, vcc, v5, v8, vcc
	v_mul_f64 v[0:1], v[0:1], s[0:1]
	v_mul_f64 v[6:7], v[6:7], s[0:1]
	v_cvt_f32_f64_e32 v0, v[0:1]
	v_cvt_f32_f64_e32 v1, v[6:7]
	global_store_dwordx2 v[4:5], v[0:1], off
	global_load_dwordx2 v[0:1], v85, s[8:9] offset:1760
	v_add_co_u32_e32 v4, vcc, s2, v4
	s_waitcnt vmcnt(0)
	v_mul_f32_e32 v6, v3, v1
	v_mul_f32_e32 v1, v2, v1
	v_fmac_f32_e32 v6, v2, v0
	v_fma_f32 v2, v0, v3, -v1
	v_cvt_f64_f32_e32 v[0:1], v6
	v_cvt_f64_f32_e32 v[2:3], v2
	v_mov_b32_e32 v6, s3
	v_addc_co_u32_e32 v5, vcc, v5, v6, vcc
	v_mul_f64 v[0:1], v[0:1], s[0:1]
	v_mul_f64 v[2:3], v[2:3], s[0:1]
	v_cvt_f32_f64_e32 v0, v[0:1]
	v_cvt_f32_f64_e32 v1, v[2:3]
	global_store_dwordx2 v[4:5], v[0:1], off
	global_load_dwordx2 v[6:7], v85, s[8:9] offset:2640
	v_add_u32_e32 v0, 0x800, v85
	ds_read2_b64 v[0:3], v0 offset0:74 offset1:184
	v_add_co_u32_e32 v4, vcc, s2, v4
	s_waitcnt vmcnt(0) lgkmcnt(0)
	v_mul_f32_e32 v8, v1, v7
	v_mul_f32_e32 v7, v0, v7
	v_fmac_f32_e32 v8, v0, v6
	v_fma_f32 v6, v6, v1, -v7
	v_cvt_f64_f32_e32 v[0:1], v8
	v_cvt_f64_f32_e32 v[6:7], v6
	v_mov_b32_e32 v8, s3
	v_addc_co_u32_e32 v5, vcc, v5, v8, vcc
	v_mul_f64 v[0:1], v[0:1], s[0:1]
	v_mul_f64 v[6:7], v[6:7], s[0:1]
	v_add_co_u32_e32 v10, vcc, s8, v85
	v_cvt_f32_f64_e32 v0, v[0:1]
	v_cvt_f32_f64_e32 v1, v[6:7]
	global_store_dwordx2 v[4:5], v[0:1], off
	global_load_dwordx2 v[0:1], v85, s[8:9] offset:3520
	s_waitcnt vmcnt(0)
	v_mul_f32_e32 v6, v3, v1
	v_mul_f32_e32 v1, v2, v1
	v_fmac_f32_e32 v6, v2, v0
	v_fma_f32 v2, v0, v3, -v1
	v_cvt_f64_f32_e32 v[0:1], v6
	v_cvt_f64_f32_e32 v[2:3], v2
	v_mov_b32_e32 v6, s9
	v_addc_co_u32_e32 v11, vcc, 0, v6, vcc
	v_mul_f64 v[0:1], v[0:1], s[0:1]
	v_mul_f64 v[2:3], v[2:3], s[0:1]
	v_add_co_u32_e32 v6, vcc, s4, v10
	v_addc_co_u32_e32 v7, vcc, 0, v11, vcc
	v_add_co_u32_e32 v4, vcc, s2, v4
	v_cvt_f32_f64_e32 v0, v[0:1]
	v_cvt_f32_f64_e32 v1, v[2:3]
	v_addc_co_u32_e32 v5, vcc, v5, v8, vcc
	s_movk_i32 s4, 0x2000
	global_store_dwordx2 v[4:5], v[0:1], off
	global_load_dwordx2 v[8:9], v[6:7], off offset:304
	v_add_u32_e32 v0, 0x1000, v85
	ds_read2_b64 v[0:3], v0 offset0:38 offset1:148
	v_add_co_u32_e32 v4, vcc, s2, v4
	s_waitcnt vmcnt(0) lgkmcnt(0)
	v_mul_f32_e32 v12, v1, v9
	v_mul_f32_e32 v9, v0, v9
	v_fmac_f32_e32 v12, v0, v8
	v_fma_f32 v8, v8, v1, -v9
	v_cvt_f64_f32_e32 v[0:1], v12
	v_cvt_f64_f32_e32 v[8:9], v8
	v_mov_b32_e32 v12, s3
	v_addc_co_u32_e32 v5, vcc, v5, v12, vcc
	v_mul_f64 v[0:1], v[0:1], s[0:1]
	v_mul_f64 v[8:9], v[8:9], s[0:1]
	v_cvt_f32_f64_e32 v0, v[0:1]
	v_cvt_f32_f64_e32 v1, v[8:9]
	global_store_dwordx2 v[4:5], v[0:1], off
	global_load_dwordx2 v[0:1], v[6:7], off offset:1184
	v_add_co_u32_e32 v4, vcc, s2, v4
	s_waitcnt vmcnt(0)
	v_mul_f32_e32 v8, v3, v1
	v_mul_f32_e32 v1, v2, v1
	v_fmac_f32_e32 v8, v2, v0
	v_fma_f32 v2, v0, v3, -v1
	v_cvt_f64_f32_e32 v[0:1], v8
	v_cvt_f64_f32_e32 v[2:3], v2
	v_mov_b32_e32 v8, s3
	v_addc_co_u32_e32 v5, vcc, v5, v8, vcc
	v_mul_f64 v[0:1], v[0:1], s[0:1]
	v_mul_f64 v[2:3], v[2:3], s[0:1]
	v_cvt_f32_f64_e32 v0, v[0:1]
	v_cvt_f32_f64_e32 v1, v[2:3]
	global_store_dwordx2 v[4:5], v[0:1], off
	global_load_dwordx2 v[8:9], v[6:7], off offset:2064
	v_add_u32_e32 v0, 0x1800, v85
	ds_read2_b64 v[0:3], v0 offset0:2 offset1:112
	v_add_co_u32_e32 v4, vcc, s2, v4
	s_waitcnt vmcnt(0) lgkmcnt(0)
	v_mul_f32_e32 v12, v1, v9
	v_mul_f32_e32 v9, v0, v9
	v_fmac_f32_e32 v12, v0, v8
	v_fma_f32 v8, v8, v1, -v9
	v_cvt_f64_f32_e32 v[0:1], v12
	v_cvt_f64_f32_e32 v[8:9], v8
	v_mov_b32_e32 v12, s3
	v_addc_co_u32_e32 v5, vcc, v5, v12, vcc
	v_mul_f64 v[0:1], v[0:1], s[0:1]
	v_mul_f64 v[8:9], v[8:9], s[0:1]
	v_cvt_f32_f64_e32 v0, v[0:1]
	v_cvt_f32_f64_e32 v1, v[8:9]
	global_store_dwordx2 v[4:5], v[0:1], off
	global_load_dwordx2 v[0:1], v[6:7], off offset:2944
	v_add_co_u32_e32 v4, vcc, s2, v4
	s_waitcnt vmcnt(0)
	v_mul_f32_e32 v8, v3, v1
	v_mul_f32_e32 v1, v2, v1
	v_fmac_f32_e32 v8, v2, v0
	v_fma_f32 v2, v0, v3, -v1
	v_cvt_f64_f32_e32 v[0:1], v8
	v_cvt_f64_f32_e32 v[2:3], v2
	v_mov_b32_e32 v8, s3
	v_addc_co_u32_e32 v5, vcc, v5, v8, vcc
	v_mul_f64 v[0:1], v[0:1], s[0:1]
	v_mul_f64 v[2:3], v[2:3], s[0:1]
	v_cvt_f32_f64_e32 v0, v[0:1]
	v_cvt_f32_f64_e32 v1, v[2:3]
	global_store_dwordx2 v[4:5], v[0:1], off
	global_load_dwordx2 v[6:7], v[6:7], off offset:3824
	v_add_u32_e32 v0, 0x1c00, v85
	ds_read2_b64 v[0:3], v0 offset0:94 offset1:204
	s_waitcnt vmcnt(0) lgkmcnt(0)
	v_mul_f32_e32 v8, v1, v7
	v_mul_f32_e32 v7, v0, v7
	v_fmac_f32_e32 v8, v0, v6
	v_fma_f32 v6, v6, v1, -v7
	v_cvt_f64_f32_e32 v[0:1], v8
	v_cvt_f64_f32_e32 v[6:7], v6
	v_add_co_u32_e32 v8, vcc, s4, v10
	v_mul_f64 v[0:1], v[0:1], s[0:1]
	v_mul_f64 v[6:7], v[6:7], s[0:1]
	v_addc_co_u32_e32 v9, vcc, 0, v11, vcc
	v_add_co_u32_e32 v4, vcc, s2, v4
	v_addc_co_u32_e32 v5, vcc, v5, v12, vcc
	v_cvt_f32_f64_e32 v0, v[0:1]
	v_cvt_f32_f64_e32 v1, v[6:7]
	s_movk_i32 s4, 0x3000
	global_store_dwordx2 v[4:5], v[0:1], off
	global_load_dwordx2 v[0:1], v[8:9], off offset:608
	v_add_co_u32_e32 v4, vcc, s2, v4
	s_waitcnt vmcnt(0)
	v_mul_f32_e32 v6, v3, v1
	v_mul_f32_e32 v1, v2, v1
	v_fmac_f32_e32 v6, v2, v0
	v_fma_f32 v2, v0, v3, -v1
	v_cvt_f64_f32_e32 v[0:1], v6
	v_cvt_f64_f32_e32 v[2:3], v2
	v_mov_b32_e32 v6, s3
	v_addc_co_u32_e32 v5, vcc, v5, v6, vcc
	v_mul_f64 v[0:1], v[0:1], s[0:1]
	v_mul_f64 v[2:3], v[2:3], s[0:1]
	v_cvt_f32_f64_e32 v0, v[0:1]
	v_cvt_f32_f64_e32 v1, v[2:3]
	global_store_dwordx2 v[4:5], v[0:1], off
	global_load_dwordx2 v[6:7], v[8:9], off offset:1488
	v_add_u32_e32 v0, 0x2400, v85
	ds_read2_b64 v[0:3], v0 offset0:58 offset1:168
	v_add_co_u32_e32 v4, vcc, s2, v4
	s_waitcnt vmcnt(0) lgkmcnt(0)
	v_mul_f32_e32 v12, v1, v7
	v_mul_f32_e32 v7, v0, v7
	v_fmac_f32_e32 v12, v0, v6
	v_fma_f32 v6, v6, v1, -v7
	v_cvt_f64_f32_e32 v[0:1], v12
	v_cvt_f64_f32_e32 v[6:7], v6
	v_mov_b32_e32 v12, s3
	v_addc_co_u32_e32 v5, vcc, v5, v12, vcc
	v_mul_f64 v[0:1], v[0:1], s[0:1]
	v_mul_f64 v[6:7], v[6:7], s[0:1]
	v_cvt_f32_f64_e32 v0, v[0:1]
	v_cvt_f32_f64_e32 v1, v[6:7]
	global_store_dwordx2 v[4:5], v[0:1], off
	global_load_dwordx2 v[0:1], v[8:9], off offset:2368
	v_add_co_u32_e32 v4, vcc, s2, v4
	s_waitcnt vmcnt(0)
	v_mul_f32_e32 v6, v3, v1
	v_mul_f32_e32 v1, v2, v1
	v_fmac_f32_e32 v6, v2, v0
	v_fma_f32 v2, v0, v3, -v1
	v_cvt_f64_f32_e32 v[0:1], v6
	v_cvt_f64_f32_e32 v[2:3], v2
	v_mov_b32_e32 v6, s3
	v_addc_co_u32_e32 v5, vcc, v5, v6, vcc
	v_mul_f64 v[0:1], v[0:1], s[0:1]
	v_mul_f64 v[2:3], v[2:3], s[0:1]
	v_cvt_f32_f64_e32 v0, v[0:1]
	v_cvt_f32_f64_e32 v1, v[2:3]
	global_store_dwordx2 v[4:5], v[0:1], off
	global_load_dwordx2 v[6:7], v[8:9], off offset:3248
	v_add_u32_e32 v0, 0x2c00, v85
	ds_read2_b64 v[0:3], v0 offset0:22 offset1:132
	s_waitcnt vmcnt(0) lgkmcnt(0)
	v_mul_f32_e32 v8, v1, v7
	v_mul_f32_e32 v7, v0, v7
	v_fmac_f32_e32 v8, v0, v6
	v_fma_f32 v6, v6, v1, -v7
	v_cvt_f64_f32_e32 v[0:1], v8
	v_cvt_f64_f32_e32 v[6:7], v6
	v_add_co_u32_e32 v8, vcc, s4, v10
	v_mul_f64 v[0:1], v[0:1], s[0:1]
	v_mul_f64 v[6:7], v[6:7], s[0:1]
	v_addc_co_u32_e32 v9, vcc, 0, v11, vcc
	v_add_co_u32_e32 v4, vcc, s2, v4
	v_addc_co_u32_e32 v5, vcc, v5, v12, vcc
	v_cvt_f32_f64_e32 v0, v[0:1]
	v_cvt_f32_f64_e32 v1, v[6:7]
	global_store_dwordx2 v[4:5], v[0:1], off
	global_load_dwordx2 v[0:1], v[8:9], off offset:32
	v_add_co_u32_e32 v4, vcc, s2, v4
	s_waitcnt vmcnt(0)
	v_mul_f32_e32 v6, v3, v1
	v_mul_f32_e32 v1, v2, v1
	v_fmac_f32_e32 v6, v2, v0
	v_fma_f32 v2, v0, v3, -v1
	v_cvt_f64_f32_e32 v[0:1], v6
	v_cvt_f64_f32_e32 v[2:3], v2
	v_mov_b32_e32 v6, s3
	v_addc_co_u32_e32 v5, vcc, v5, v6, vcc
	v_mul_f64 v[0:1], v[0:1], s[0:1]
	v_mul_f64 v[2:3], v[2:3], s[0:1]
	v_cvt_f32_f64_e32 v0, v[0:1]
	v_cvt_f32_f64_e32 v1, v[2:3]
	global_store_dwordx2 v[4:5], v[0:1], off
	global_load_dwordx2 v[6:7], v[8:9], off offset:912
	v_add_u32_e32 v0, 0x3000, v85
	ds_read2_b64 v[0:3], v0 offset0:114 offset1:224
	v_add_co_u32_e32 v4, vcc, s2, v4
	s_waitcnt vmcnt(0) lgkmcnt(0)
	v_mul_f32_e32 v10, v1, v7
	v_mul_f32_e32 v7, v0, v7
	v_fmac_f32_e32 v10, v0, v6
	v_fma_f32 v6, v6, v1, -v7
	v_cvt_f64_f32_e32 v[0:1], v10
	v_cvt_f64_f32_e32 v[6:7], v6
	v_mov_b32_e32 v10, s3
	v_addc_co_u32_e32 v5, vcc, v5, v10, vcc
	v_mul_f64 v[0:1], v[0:1], s[0:1]
	v_mul_f64 v[6:7], v[6:7], s[0:1]
	v_cvt_f32_f64_e32 v0, v[0:1]
	v_cvt_f32_f64_e32 v1, v[6:7]
	global_store_dwordx2 v[4:5], v[0:1], off
	global_load_dwordx2 v[0:1], v[8:9], off offset:1792
	s_waitcnt vmcnt(0)
	v_mul_f32_e32 v6, v3, v1
	v_mul_f32_e32 v1, v2, v1
	v_fmac_f32_e32 v6, v2, v0
	v_fma_f32 v2, v0, v3, -v1
	v_cvt_f64_f32_e32 v[0:1], v6
	v_cvt_f64_f32_e32 v[2:3], v2
	v_mov_b32_e32 v6, s3
	v_mul_f64 v[0:1], v[0:1], s[0:1]
	v_mul_f64 v[2:3], v[2:3], s[0:1]
	v_cvt_f32_f64_e32 v0, v[0:1]
	v_cvt_f32_f64_e32 v1, v[2:3]
	v_add_co_u32_e32 v2, vcc, s2, v4
	v_addc_co_u32_e32 v3, vcc, v5, v6, vcc
	global_store_dwordx2 v[2:3], v[0:1], off
.LBB0_23:
	s_endpgm
	.section	.rodata,"a",@progbits
	.p2align	6, 0x0
	.amdhsa_kernel bluestein_single_fwd_len1870_dim1_sp_op_CI_CI
		.amdhsa_group_segment_fixed_size 14960
		.amdhsa_private_segment_fixed_size 0
		.amdhsa_kernarg_size 104
		.amdhsa_user_sgpr_count 6
		.amdhsa_user_sgpr_private_segment_buffer 1
		.amdhsa_user_sgpr_dispatch_ptr 0
		.amdhsa_user_sgpr_queue_ptr 0
		.amdhsa_user_sgpr_kernarg_segment_ptr 1
		.amdhsa_user_sgpr_dispatch_id 0
		.amdhsa_user_sgpr_flat_scratch_init 0
		.amdhsa_user_sgpr_private_segment_size 0
		.amdhsa_uses_dynamic_stack 0
		.amdhsa_system_sgpr_private_segment_wavefront_offset 0
		.amdhsa_system_sgpr_workgroup_id_x 1
		.amdhsa_system_sgpr_workgroup_id_y 0
		.amdhsa_system_sgpr_workgroup_id_z 0
		.amdhsa_system_sgpr_workgroup_info 0
		.amdhsa_system_vgpr_workitem_id 0
		.amdhsa_next_free_vgpr 256
		.amdhsa_next_free_sgpr 22
		.amdhsa_reserve_vcc 1
		.amdhsa_reserve_flat_scratch 0
		.amdhsa_float_round_mode_32 0
		.amdhsa_float_round_mode_16_64 0
		.amdhsa_float_denorm_mode_32 3
		.amdhsa_float_denorm_mode_16_64 3
		.amdhsa_dx10_clamp 1
		.amdhsa_ieee_mode 1
		.amdhsa_fp16_overflow 0
		.amdhsa_exception_fp_ieee_invalid_op 0
		.amdhsa_exception_fp_denorm_src 0
		.amdhsa_exception_fp_ieee_div_zero 0
		.amdhsa_exception_fp_ieee_overflow 0
		.amdhsa_exception_fp_ieee_underflow 0
		.amdhsa_exception_fp_ieee_inexact 0
		.amdhsa_exception_int_div_zero 0
	.end_amdhsa_kernel
	.text
.Lfunc_end0:
	.size	bluestein_single_fwd_len1870_dim1_sp_op_CI_CI, .Lfunc_end0-bluestein_single_fwd_len1870_dim1_sp_op_CI_CI
                                        ; -- End function
	.section	.AMDGPU.csdata,"",@progbits
; Kernel info:
; codeLenInByte = 21792
; NumSgprs: 26
; NumVgprs: 256
; ScratchSize: 0
; MemoryBound: 0
; FloatMode: 240
; IeeeMode: 1
; LDSByteSize: 14960 bytes/workgroup (compile time only)
; SGPRBlocks: 3
; VGPRBlocks: 63
; NumSGPRsForWavesPerEU: 26
; NumVGPRsForWavesPerEU: 256
; Occupancy: 1
; WaveLimiterHint : 1
; COMPUTE_PGM_RSRC2:SCRATCH_EN: 0
; COMPUTE_PGM_RSRC2:USER_SGPR: 6
; COMPUTE_PGM_RSRC2:TRAP_HANDLER: 0
; COMPUTE_PGM_RSRC2:TGID_X_EN: 1
; COMPUTE_PGM_RSRC2:TGID_Y_EN: 0
; COMPUTE_PGM_RSRC2:TGID_Z_EN: 0
; COMPUTE_PGM_RSRC2:TIDIG_COMP_CNT: 0
	.type	__hip_cuid_f3fe7fa5b0833401,@object ; @__hip_cuid_f3fe7fa5b0833401
	.section	.bss,"aw",@nobits
	.globl	__hip_cuid_f3fe7fa5b0833401
__hip_cuid_f3fe7fa5b0833401:
	.byte	0                               ; 0x0
	.size	__hip_cuid_f3fe7fa5b0833401, 1

	.ident	"AMD clang version 19.0.0git (https://github.com/RadeonOpenCompute/llvm-project roc-6.4.0 25133 c7fe45cf4b819c5991fe208aaa96edf142730f1d)"
	.section	".note.GNU-stack","",@progbits
	.addrsig
	.addrsig_sym __hip_cuid_f3fe7fa5b0833401
	.amdgpu_metadata
---
amdhsa.kernels:
  - .args:
      - .actual_access:  read_only
        .address_space:  global
        .offset:         0
        .size:           8
        .value_kind:     global_buffer
      - .actual_access:  read_only
        .address_space:  global
        .offset:         8
        .size:           8
        .value_kind:     global_buffer
      - .actual_access:  read_only
        .address_space:  global
        .offset:         16
        .size:           8
        .value_kind:     global_buffer
      - .actual_access:  read_only
        .address_space:  global
        .offset:         24
        .size:           8
        .value_kind:     global_buffer
      - .actual_access:  read_only
        .address_space:  global
        .offset:         32
        .size:           8
        .value_kind:     global_buffer
      - .offset:         40
        .size:           8
        .value_kind:     by_value
      - .address_space:  global
        .offset:         48
        .size:           8
        .value_kind:     global_buffer
      - .address_space:  global
        .offset:         56
        .size:           8
        .value_kind:     global_buffer
      - .address_space:  global
        .offset:         64
        .size:           8
        .value_kind:     global_buffer
      - .address_space:  global
        .offset:         72
        .size:           8
        .value_kind:     global_buffer
      - .offset:         80
        .size:           4
        .value_kind:     by_value
      - .address_space:  global
        .offset:         88
        .size:           8
        .value_kind:     global_buffer
      - .address_space:  global
        .offset:         96
        .size:           8
        .value_kind:     global_buffer
    .group_segment_fixed_size: 14960
    .kernarg_segment_align: 8
    .kernarg_segment_size: 104
    .language:       OpenCL C
    .language_version:
      - 2
      - 0
    .max_flat_workgroup_size: 187
    .name:           bluestein_single_fwd_len1870_dim1_sp_op_CI_CI
    .private_segment_fixed_size: 0
    .sgpr_count:     26
    .sgpr_spill_count: 0
    .symbol:         bluestein_single_fwd_len1870_dim1_sp_op_CI_CI.kd
    .uniform_work_group_size: 1
    .uses_dynamic_stack: false
    .vgpr_count:     256
    .vgpr_spill_count: 0
    .wavefront_size: 64
amdhsa.target:   amdgcn-amd-amdhsa--gfx906
amdhsa.version:
  - 1
  - 2
...

	.end_amdgpu_metadata
